;; amdgpu-corpus repo=ROCm/rocFFT kind=compiled arch=gfx950 opt=O3
	.text
	.amdgcn_target "amdgcn-amd-amdhsa--gfx950"
	.amdhsa_code_object_version 6
	.protected	bluestein_single_fwd_len1300_dim1_sp_op_CI_CI ; -- Begin function bluestein_single_fwd_len1300_dim1_sp_op_CI_CI
	.globl	bluestein_single_fwd_len1300_dim1_sp_op_CI_CI
	.p2align	8
	.type	bluestein_single_fwd_len1300_dim1_sp_op_CI_CI,@function
bluestein_single_fwd_len1300_dim1_sp_op_CI_CI: ; @bluestein_single_fwd_len1300_dim1_sp_op_CI_CI
; %bb.0:
	s_load_dwordx4 s[12:15], s[0:1], 0x28
	v_mul_u32_u24_e32 v1, 0x1f9, v0
	v_add_u32_sdwa v72, s2, v1 dst_sel:DWORD dst_unused:UNUSED_PAD src0_sel:DWORD src1_sel:WORD_1
	v_mov_b32_e32 v73, 0
	s_waitcnt lgkmcnt(0)
	v_cmp_gt_u64_e32 vcc, s[12:13], v[72:73]
	s_and_saveexec_b64 s[2:3], vcc
	s_cbranch_execz .LBB0_10
; %bb.1:
	s_load_dwordx4 s[4:7], s[0:1], 0x18
	s_load_dwordx4 s[8:11], s[0:1], 0x0
	v_mov_b32_e32 v2, s14
	v_mov_b32_e32 v3, s15
	s_movk_i32 s2, 0x82
	s_waitcnt lgkmcnt(0)
	s_load_dwordx4 s[12:15], s[4:5], 0x0
	v_mul_lo_u16_sdwa v1, v1, s2 dst_sel:DWORD dst_unused:UNUSED_PAD src0_sel:WORD_1 src1_sel:DWORD
	v_sub_u16_e32 v204, v0, v1
	v_mov_b32_e32 v16, 0x410
	v_lshlrev_b32_e32 v64, 3, v204
	s_waitcnt lgkmcnt(0)
	v_mad_u64_u32 v[0:1], s[2:3], s14, v72, 0
	v_mov_b32_e32 v4, v1
	v_mad_u64_u32 v[4:5], s[2:3], s15, v72, v[4:5]
	v_mov_b32_e32 v1, v4
	v_mad_u64_u32 v[4:5], s[2:3], s12, v204, 0
	v_mov_b32_e32 v6, v5
	v_mad_u64_u32 v[6:7], s[2:3], s13, v204, v[6:7]
	v_mov_b32_e32 v5, v6
	v_lshl_add_u64 v[0:1], v[0:1], 3, v[2:3]
	v_lshl_add_u64 v[0:1], v[4:5], 3, v[0:1]
	global_load_dwordx2 v[2:3], v[0:1], off
	v_mad_u64_u32 v[0:1], s[2:3], s12, v16, v[0:1]
	s_mul_i32 s4, s13, 0x410
	v_add_u32_e32 v1, s4, v1
	v_mad_u64_u32 v[6:7], s[2:3], s12, v16, v[0:1]
	v_add_u32_e32 v7, s4, v7
	v_mad_u64_u32 v[8:9], s[2:3], s12, v16, v[6:7]
	v_add_u32_e32 v9, s4, v9
	v_mov_b32_e32 v65, v73
	v_mad_u64_u32 v[10:11], s[2:3], s12, v16, v[8:9]
	v_lshl_add_u64 v[4:5], s[8:9], 0, v[64:65]
	v_add_u32_e32 v11, s4, v11
	s_movk_i32 s2, 0x1000
	global_load_dwordx2 v[86:87], v64, s[8:9]
	global_load_dwordx2 v[84:85], v64, s[8:9] offset:1040
	global_load_dwordx2 v[80:81], v64, s[8:9] offset:2080
	;; [unrolled: 1-line block ×3, first 2 shown]
	global_load_dwordx2 v[12:13], v[0:1], off
	global_load_dwordx2 v[14:15], v[6:7], off
	;; [unrolled: 1-line block ×4, first 2 shown]
	v_add_co_u32_e32 v0, vcc, s2, v4
	v_mad_u64_u32 v[6:7], s[2:3], s12, v16, v[10:11]
	v_add_u32_e32 v7, s4, v7
	global_load_dwordx2 v[8:9], v[6:7], off
	v_mad_u64_u32 v[6:7], s[2:3], s12, v16, v[6:7]
	v_addc_co_u32_e32 v1, vcc, 0, v5, vcc
	v_add_u32_e32 v7, s4, v7
	global_load_dwordx2 v[82:83], v[0:1], off offset:64
	global_load_dwordx2 v[10:11], v[6:7], off
	global_load_dwordx2 v[78:79], v[0:1], off offset:1104
	v_mad_u64_u32 v[6:7], s[2:3], s12, v16, v[6:7]
	v_add_u32_e32 v7, s4, v7
	global_load_dwordx2 v[22:23], v[6:7], off
	global_load_dwordx2 v[76:77], v[0:1], off offset:2144
	global_load_dwordx2 v[70:71], v[0:1], off offset:3184
	v_mad_u64_u32 v[0:1], s[2:3], s12, v16, v[6:7]
	s_movk_i32 s2, 0x2000
	v_add_u32_e32 v1, s4, v1
	v_add_co_u32_e32 v4, vcc, s2, v4
	global_load_dwordx2 v[6:7], v[0:1], off
	s_nop 0
	v_addc_co_u32_e32 v5, vcc, 0, v5, vcc
	v_mad_u64_u32 v[0:1], s[2:3], s12, v16, v[0:1]
	global_load_dwordx2 v[68:69], v[4:5], off offset:128
	v_add_u32_e32 v1, s4, v1
	global_load_dwordx2 v[66:67], v[4:5], off offset:1168
	global_load_dwordx2 v[24:25], v[0:1], off
	v_add_u32_e32 v16, 0x800, v64
	v_add_u32_e32 v17, 0x1000, v64
	s_load_dwordx4 s[4:7], s[6:7], 0x0
	s_mov_b32 s2, 0x3f737871
	s_mov_b32 s12, 0x3f167918
	s_mov_b32 s14, 0x3e9e377a
	s_mov_b32 s16, 0xbf737871
	s_mov_b32 s17, s2
	s_mov_b32 s20, 0x3f4f1bbd
	s_mov_b32 s18, 0xbf167918
	s_mov_b32 s19, s12
                                        ; implicit-def: $vgpr100
                                        ; implicit-def: $vgpr102
                                        ; implicit-def: $vgpr98
                                        ; implicit-def: $vgpr104
	s_waitcnt vmcnt(18)
	v_mul_f32_e32 v0, v3, v87
	v_mul_f32_e32 v1, v2, v87
	v_fmac_f32_e32 v0, v2, v86
	v_fma_f32 v1, v3, v86, -v1
	s_waitcnt vmcnt(14)
	v_mul_f32_e32 v2, v13, v85
	v_mul_f32_e32 v3, v12, v85
	v_fmac_f32_e32 v2, v12, v84
	v_fma_f32 v3, v13, v84, -v3
	ds_write2_b64 v64, v[0:1], v[2:3] offset1:130
	s_waitcnt vmcnt(13)
	v_mul_f32_e32 v0, v15, v81
	v_mul_f32_e32 v1, v14, v81
	s_waitcnt vmcnt(12)
	v_mul_f32_e32 v2, v19, v75
	v_mul_f32_e32 v3, v18, v75
	v_fmac_f32_e32 v0, v14, v80
	v_fma_f32 v1, v15, v80, -v1
	v_fmac_f32_e32 v2, v18, v74
	v_fma_f32 v3, v19, v74, -v3
	ds_write2_b64 v16, v[0:1], v[2:3] offset0:4 offset1:134
	s_waitcnt vmcnt(9)
	v_mul_f32_e32 v0, v21, v83
	v_mul_f32_e32 v1, v20, v83
	s_waitcnt vmcnt(7)
	v_mul_f32_e32 v2, v9, v79
	v_mul_f32_e32 v3, v8, v79
	v_fmac_f32_e32 v0, v20, v82
	v_fma_f32 v1, v21, v82, -v1
	v_fmac_f32_e32 v2, v8, v78
	v_fma_f32 v3, v9, v78, -v3
	ds_write2_b64 v17, v[0:1], v[2:3] offset0:8 offset1:138
	s_waitcnt vmcnt(5)
	v_mul_f32_e32 v0, v11, v77
	v_mul_f32_e32 v1, v10, v77
	s_waitcnt vmcnt(4)
	v_mul_f32_e32 v2, v23, v71
	v_mul_f32_e32 v3, v22, v71
	v_fmac_f32_e32 v0, v10, v76
	v_fma_f32 v1, v11, v76, -v1
	v_fmac_f32_e32 v2, v22, v70
	v_fma_f32 v3, v23, v70, -v3
	v_add_u32_e32 v18, 0x1800, v64
	ds_write2_b64 v18, v[0:1], v[2:3] offset0:12 offset1:142
	s_waitcnt vmcnt(2)
	v_mul_f32_e32 v0, v7, v69
	v_mul_f32_e32 v1, v6, v69
	s_waitcnt vmcnt(0)
	v_mul_f32_e32 v2, v25, v67
	v_mul_f32_e32 v3, v24, v67
	v_fmac_f32_e32 v0, v6, v68
	v_fma_f32 v1, v7, v68, -v1
	v_fmac_f32_e32 v2, v24, v66
	v_fma_f32 v3, v25, v66, -v3
	v_add_u32_e32 v19, 0x2000, v64
	ds_write2_b64 v19, v[0:1], v[2:3] offset0:16 offset1:146
	s_waitcnt lgkmcnt(0)
	s_barrier
	ds_read2_b64 v[0:3], v64 offset1:130
	ds_read2_b64 v[4:7], v16 offset0:4 offset1:134
	ds_read2_b64 v[8:11], v19 offset0:16 offset1:146
	;; [unrolled: 1-line block ×4, first 2 shown]
	s_waitcnt lgkmcnt(0)
	v_pk_add_f32 v[24:25], v[0:1], v[4:5]
	v_pk_add_f32 v[26:27], v[2:3], v[6:7]
	v_pk_add_f32 v[34:35], v[6:7], v[10:11] neg_lo:[0,1] neg_hi:[0,1]
	v_pk_add_f32 v[36:37], v[6:7], v[10:11]
	v_pk_add_f32 v[38:39], v[14:15], v[6:7] neg_lo:[0,1] neg_hi:[0,1]
	v_pk_add_f32 v[40:41], v[6:7], v[14:15] neg_lo:[0,1] neg_hi:[0,1]
	v_pk_add_f32 v[6:7], v[24:25], v[12:13]
	v_pk_add_f32 v[24:25], v[26:27], v[14:15]
	v_pk_add_f32 v[28:29], v[4:5], v[8:9] neg_lo:[0,1] neg_hi:[0,1]
	v_pk_add_f32 v[30:31], v[4:5], v[12:13] neg_lo:[0,1] neg_hi:[0,1]
	v_pk_add_f32 v[32:33], v[4:5], v[8:9]
	v_pk_add_f32 v[4:5], v[12:13], v[4:5] neg_lo:[0,1] neg_hi:[0,1]
	v_pk_add_f32 v[26:27], v[12:13], v[20:21]
	v_pk_add_f32 v[12:13], v[12:13], v[20:21] neg_lo:[0,1] neg_hi:[0,1]
	v_pk_add_f32 v[42:43], v[14:15], v[22:23] neg_lo:[0,1] neg_hi:[0,1]
	v_pk_add_f32 v[6:7], v[6:7], v[20:21]
	v_pk_add_f32 v[24:25], v[24:25], v[22:23]
	v_pk_add_f32 v[44:45], v[8:9], v[20:21] neg_lo:[0,1] neg_hi:[0,1]
	v_pk_add_f32 v[20:21], v[20:21], v[8:9] neg_lo:[0,1] neg_hi:[0,1]
	v_pk_add_f32 v[14:15], v[14:15], v[22:23]
	v_pk_add_f32 v[46:47], v[22:23], v[10:11] neg_lo:[0,1] neg_hi:[0,1]
	v_pk_add_f32 v[22:23], v[10:11], v[22:23] neg_lo:[0,1] neg_hi:[0,1]
	v_pk_add_f32 v[10:11], v[24:25], v[10:11]
	v_pk_add_f32 v[4:5], v[4:5], v[20:21]
	v_pk_fma_f32 v[20:21], v[36:37], 0.5, v[2:3] op_sel_hi:[1,0,1] neg_lo:[1,0,0] neg_hi:[1,0,0]
	v_pk_mul_f32 v[24:25], v[42:43], s[2:3] op_sel_hi:[1,0]
	v_pk_add_f32 v[8:9], v[6:7], v[8:9]
	v_pk_add_f32 v[36:37], v[20:21], v[24:25] op_sel:[0,1] op_sel_hi:[1,0] neg_lo:[0,1] neg_hi:[0,1]
	v_pk_add_f32 v[20:21], v[20:21], v[24:25] op_sel:[0,1] op_sel_hi:[1,0]
	v_pk_mul_f32 v[24:25], v[34:35], s[12:13] op_sel_hi:[1,0]
	v_pk_add_f32 v[6:7], v[38:39], v[46:47]
	v_pk_add_f32 v[20:21], v[20:21], v[24:25] op_sel:[0,1] op_sel_hi:[1,0] neg_lo:[0,1] neg_hi:[0,1]
	v_pk_add_f32 v[24:25], v[36:37], v[24:25] op_sel:[0,1] op_sel_hi:[1,0]
	v_mov_b32_e32 v37, v21
	v_mov_b32_e32 v36, v24
	v_pk_fma_f32 v[36:37], v[6:7], s[14:15], v[36:37] op_sel_hi:[1,0,1]
	v_pk_fma_f32 v[32:33], v[32:33], 0.5, v[0:1] op_sel_hi:[1,0,1] neg_lo:[1,0,0] neg_hi:[1,0,0]
	v_pk_mul_f32 v[38:39], v[36:37], s[2:3] op_sel_hi:[1,0]
	v_mov_b32_e32 v21, v25
	v_pk_fma_f32 v[46:47], v[36:37], s[14:15], v[38:39] op_sel:[0,0,1] op_sel_hi:[1,0,0]
	v_pk_fma_f32 v[36:37], v[36:37], s[14:15], v[38:39] op_sel:[0,0,1] op_sel_hi:[1,0,0] neg_lo:[0,0,1] neg_hi:[0,0,1]
	v_pk_fma_f32 v[6:7], v[6:7], s[14:15], v[20:21] op_sel_hi:[1,0,1]
	v_mov_b32_e32 v47, v37
	v_pk_mul_f32 v[36:37], v[12:13], s[2:3] op_sel_hi:[1,0]
	v_pk_mul_f32 v[20:21], v[6:7], s[14:15] op_sel_hi:[1,0]
	v_pk_add_f32 v[38:39], v[32:33], v[36:37] op_sel:[0,1] op_sel_hi:[1,0] neg_lo:[0,1] neg_hi:[0,1]
	v_pk_add_f32 v[32:33], v[32:33], v[36:37] op_sel:[0,1] op_sel_hi:[1,0]
	v_pk_mul_f32 v[36:37], v[28:29], s[12:13] op_sel_hi:[1,0]
	v_pk_fma_f32 v[20:21], v[6:7], s[16:17], v[20:21] op_sel:[0,0,1] op_sel_hi:[1,1,0] neg_lo:[0,0,1] neg_hi:[0,0,1]
	v_pk_add_f32 v[32:33], v[32:33], v[36:37] op_sel:[0,1] op_sel_hi:[1,0] neg_lo:[0,1] neg_hi:[0,1]
	v_pk_add_f32 v[36:37], v[38:39], v[36:37] op_sel:[0,1] op_sel_hi:[1,0]
	v_mov_b32_e32 v7, v33
	v_mov_b32_e32 v6, v36
	;; [unrolled: 1-line block ×3, first 2 shown]
	v_pk_fma_f32 v[24:25], v[4:5], s[14:15], v[6:7] op_sel_hi:[1,0,1]
	v_pk_fma_f32 v[32:33], v[4:5], s[14:15], v[32:33] op_sel_hi:[1,0,1]
	v_mul_lo_u16_e32 v4, 10, v204
	v_lshlrev_b32_e32 v73, 3, v4
	v_pk_add_f32 v[4:5], v[24:25], v[46:47]
	v_pk_add_f32 v[6:7], v[32:33], v[20:21] op_sel:[0,1] op_sel_hi:[1,0]
	s_barrier
	ds_write_b128 v73, v[4:7] offset:16
	v_pk_fma_f32 v[0:1], v[26:27], 0.5, v[0:1] op_sel_hi:[1,0,1] neg_lo:[1,0,0] neg_hi:[1,0,0]
	v_pk_mul_f32 v[6:7], v[28:29], s[2:3] op_sel_hi:[1,0]
	v_pk_fma_f32 v[2:3], v[14:15], 0.5, v[2:3] op_sel_hi:[1,0,1] neg_lo:[1,0,0] neg_hi:[1,0,0]
	v_pk_add_f32 v[14:15], v[0:1], v[6:7] op_sel:[0,1] op_sel_hi:[1,0]
	v_pk_add_f32 v[0:1], v[0:1], v[6:7] op_sel:[0,1] op_sel_hi:[1,0] neg_lo:[0,1] neg_hi:[0,1]
	v_pk_mul_f32 v[6:7], v[12:13], s[12:13] op_sel_hi:[1,0]
	v_pk_add_f32 v[4:5], v[30:31], v[44:45]
	v_pk_add_f32 v[12:13], v[0:1], v[6:7] op_sel:[0,1] op_sel_hi:[1,0] neg_lo:[0,1] neg_hi:[0,1]
	v_pk_add_f32 v[0:1], v[14:15], v[6:7] op_sel:[0,1] op_sel_hi:[1,0]
	v_mov_b32_e32 v7, v13
	v_mov_b32_e32 v6, v0
	;; [unrolled: 1-line block ×3, first 2 shown]
	v_pk_fma_f32 v[6:7], v[4:5], s[14:15], v[6:7] op_sel_hi:[1,0,1]
	v_pk_fma_f32 v[4:5], v[4:5], s[14:15], v[12:13] op_sel_hi:[1,0,1]
	v_pk_mul_f32 v[12:13], v[34:35], s[2:3] op_sel_hi:[1,0]
	v_pk_add_f32 v[14:15], v[40:41], v[22:23]
	v_pk_add_f32 v[22:23], v[2:3], v[12:13] op_sel:[0,1] op_sel_hi:[1,0]
	v_pk_mul_f32 v[26:27], v[42:43], s[12:13] op_sel_hi:[1,0]
	v_pk_add_f32 v[2:3], v[2:3], v[12:13] op_sel:[0,1] op_sel_hi:[1,0] neg_lo:[0,1] neg_hi:[0,1]
	v_pk_add_f32 v[22:23], v[26:27], v[22:23] op_sel:[1,0] op_sel_hi:[0,1]
	v_pk_add_f32 v[2:3], v[2:3], v[26:27] op_sel:[0,1] op_sel_hi:[1,0] neg_lo:[0,1] neg_hi:[0,1]
	v_pk_fma_f32 v[12:13], v[14:15], s[14:15], v[22:23] op_sel_hi:[1,0,1]
	v_pk_fma_f32 v[26:27], v[14:15], s[14:15], v[2:3] op_sel_hi:[1,0,1]
	v_mov_b32_e32 v3, v23
	v_pk_fma_f32 v[2:3], v[14:15], s[14:15], v[2:3] op_sel_hi:[1,0,1]
	s_mov_b32 s13, s20
	v_pk_mul_f32 v[14:15], v[2:3], s[20:21] op_sel_hi:[1,0]
	s_mov_b32 s21, s12
	v_pk_fma_f32 v[14:15], v[2:3], s[18:19], v[14:15] op_sel:[0,0,1] op_sel_hi:[1,1,0] neg_lo:[0,0,1] neg_hi:[0,0,1]
	v_pk_mul_f32 v[2:3], v[12:13], s[20:21] op_sel_hi:[0,1]
	v_pk_fma_f32 v[12:13], v[26:27], s[12:13], v[2:3] op_sel:[1,0,0]
	v_pk_fma_f32 v[2:3], v[26:27], s[12:13], v[2:3] op_sel:[1,0,0] neg_lo:[0,0,1] neg_hi:[0,0,1]
	v_pk_add_f32 v[0:1], v[8:9], v[10:11]
	v_mov_b32_e32 v13, v3
	v_pk_add_f32 v[2:3], v[6:7], v[12:13]
	v_pk_add_f32 v[22:23], v[4:5], v[14:15] op_sel:[1,0] op_sel_hi:[0,1]
	ds_write_b128 v73, v[0:3]
	v_pk_add_f32 v[2:3], v[8:9], v[10:11] neg_lo:[0,1] neg_hi:[0,1]
	v_mov_b32_e32 v0, v23
	v_mov_b32_e32 v1, v22
	ds_write_b128 v73, v[0:3] offset:32
	v_pk_add_f32 v[0:1], v[6:7], v[12:13] neg_lo:[0,1] neg_hi:[0,1]
	v_pk_add_f32 v[2:3], v[24:25], v[46:47] neg_lo:[0,1] neg_hi:[0,1]
	v_pk_add_f32 v[4:5], v[4:5], v[14:15] op_sel:[1,0] op_sel_hi:[0,1] neg_lo:[0,1] neg_hi:[0,1]
	ds_write_b128 v73, v[0:3] offset:48
	v_pk_add_f32 v[0:1], v[32:33], v[20:21] op_sel:[0,1] op_sel_hi:[1,0] neg_lo:[0,1] neg_hi:[0,1]
	v_mov_b32_e32 v2, v5
	v_mov_b32_e32 v3, v4
	s_movk_i32 s3, 0xcd
	ds_write_b128 v73, v[0:3] offset:64
	v_mul_lo_u16_sdwa v0, v204, s3 dst_sel:DWORD dst_unused:UNUSED_PAD src0_sel:BYTE_0 src1_sel:DWORD
	v_lshrrev_b16_e32 v65, 11, v0
	v_mul_lo_u16_e32 v0, 10, v65
	v_sub_u16_e32 v0, v204, v0
	v_and_b32_e32 v89, 0xff, v0
	s_movk_i32 s3, 0x48
	v_mov_b64_e32 v[0:1], s[10:11]
	v_mad_u64_u32 v[20:21], s[22:23], v89, s3, v[0:1]
	s_waitcnt lgkmcnt(0)
	s_barrier
	global_load_dwordx4 v[12:15], v[20:21], off offset:48
	global_load_dwordx2 v[94:95], v[20:21], off offset:64
	global_load_dwordx4 v[0:3], v[20:21], off
	global_load_dwordx4 v[4:7], v[20:21], off offset:16
	global_load_dwordx4 v[8:11], v[20:21], off offset:32
	ds_read2_b64 v[20:23], v19 offset0:16 offset1:146
	s_waitcnt vmcnt(4)
	v_mov_b32_e32 v96, v15
	s_waitcnt lgkmcnt(0)
	v_pk_mul_f32 v[24:25], v[20:21], v[96:97] op_sel_hi:[1,0]
	s_waitcnt vmcnt(2)
	v_mov_b32_e32 v88, v3
	v_pk_fma_f32 v[28:29], v[20:21], v[14:15], v[24:25] op_sel:[0,0,1] op_sel_hi:[1,1,0] neg_lo:[0,0,1] neg_hi:[0,0,1]
	v_pk_fma_f32 v[30:31], v[20:21], v[14:15], v[24:25] op_sel:[0,0,1] op_sel_hi:[1,0,0]
	ds_read2_b64 v[24:27], v16 offset0:4 offset1:134
	v_pk_mul_f32 v[20:21], v[22:23], v[94:95] op_sel:[0,1]
	s_waitcnt vmcnt(1)
	v_mov_b32_e32 v90, v7
	v_pk_fma_f32 v[32:33], v[22:23], v[94:95], v[20:21] op_sel:[0,0,1] op_sel_hi:[1,1,0] neg_lo:[0,0,1] neg_hi:[0,0,1]
	v_pk_fma_f32 v[34:35], v[22:23], v[94:95], v[20:21] op_sel:[0,0,1] op_sel_hi:[1,0,0]
	s_waitcnt lgkmcnt(0)
	v_pk_mul_f32 v[20:21], v[24:25], v[88:89] op_sel_hi:[1,0]
	s_waitcnt vmcnt(0)
	v_mov_b32_e32 v92, v11
	v_pk_fma_f32 v[36:37], v[24:25], v[2:3], v[20:21] op_sel:[0,0,1] op_sel_hi:[1,1,0] neg_lo:[0,0,1] neg_hi:[0,0,1]
	v_pk_fma_f32 v[38:39], v[24:25], v[2:3], v[20:21] op_sel:[0,0,1] op_sel_hi:[1,0,0]
	ds_read2_b64 v[20:23], v17 offset0:8 offset1:138
	v_pk_mul_f32 v[24:25], v[26:27], v[4:5] op_sel_hi:[1,0]
	v_mov_b32_e32 v29, v31
	v_pk_fma_f32 v[40:41], v[26:27], v[4:5], v[24:25] op_sel:[0,1,1] op_sel_hi:[1,1,0]
	v_pk_fma_f32 v[42:43], v[26:27], v[4:5], v[24:25] op_sel:[0,1,1] op_sel_hi:[1,1,0] neg_lo:[1,0,0] neg_hi:[1,0,0]
	s_waitcnt lgkmcnt(0)
	v_pk_mul_f32 v[24:25], v[20:21], v[90:91] op_sel_hi:[1,0]
	v_mov_b32_e32 v37, v39
	v_pk_fma_f32 v[44:45], v[20:21], v[6:7], v[24:25] op_sel:[0,0,1] op_sel_hi:[1,1,0] neg_lo:[0,0,1] neg_hi:[0,0,1]
	v_pk_fma_f32 v[46:47], v[20:21], v[6:7], v[24:25] op_sel:[0,0,1] op_sel_hi:[1,0,0]
	ds_read2_b64 v[24:27], v18 offset0:12 offset1:142
	v_pk_mul_f32 v[20:21], v[22:23], v[8:9] op_sel_hi:[1,0]
	v_mov_b32_e32 v45, v47
	v_pk_fma_f32 v[48:49], v[22:23], v[8:9], v[20:21] op_sel:[0,1,1] op_sel_hi:[1,1,0]
	v_pk_fma_f32 v[50:51], v[22:23], v[8:9], v[20:21] op_sel:[0,1,1] op_sel_hi:[1,1,0] neg_lo:[1,0,0] neg_hi:[1,0,0]
	s_waitcnt lgkmcnt(0)
	v_pk_mul_f32 v[20:21], v[24:25], v[92:93] op_sel_hi:[1,0]
	v_pk_mul_f32 v[54:55], v[26:27], v[12:13] op_sel_hi:[1,0]
	v_pk_fma_f32 v[52:53], v[24:25], v[10:11], v[20:21] op_sel:[0,0,1] op_sel_hi:[1,1,0] neg_lo:[0,0,1] neg_hi:[0,0,1]
	v_pk_fma_f32 v[24:25], v[24:25], v[10:11], v[20:21] op_sel:[0,0,1] op_sel_hi:[1,0,0]
	ds_read2_b64 v[20:23], v64 offset1:130
	v_pk_fma_f32 v[56:57], v[26:27], v[12:13], v[54:55] op_sel:[0,1,1] op_sel_hi:[1,1,0]
	v_pk_fma_f32 v[26:27], v[26:27], v[12:13], v[54:55] op_sel:[0,1,1] op_sel_hi:[1,1,0] neg_lo:[1,0,0] neg_hi:[1,0,0]
	v_mov_b32_e32 v53, v25
	v_mov_b32_e32 v57, v27
	s_waitcnt lgkmcnt(0)
	v_pk_mul_f32 v[30:31], v[22:23], v[0:1] op_sel_hi:[1,0]
	v_pk_add_f32 v[26:27], v[36:37], v[44:45] neg_lo:[0,1] neg_hi:[0,1]
	v_pk_fma_f32 v[54:55], v[22:23], v[0:1], v[30:31] op_sel:[0,1,1] op_sel_hi:[1,1,0]
	v_pk_fma_f32 v[22:23], v[22:23], v[0:1], v[30:31] op_sel:[0,1,1] op_sel_hi:[1,1,0] neg_lo:[1,0,0] neg_hi:[1,0,0]
	v_pk_add_f32 v[30:31], v[28:29], v[52:53] neg_lo:[0,1] neg_hi:[0,1]
	v_mov_b32_e32 v55, v23
	v_pk_add_f32 v[22:23], v[44:45], v[52:53]
	v_pk_add_f32 v[26:27], v[26:27], v[30:31]
	v_pk_add_f32 v[30:31], v[36:37], v[28:29] neg_lo:[0,1] neg_hi:[0,1]
	v_mov_b32_e32 v49, v51
	v_pk_fma_f32 v[22:23], v[22:23], 0.5, v[20:21] op_sel_hi:[1,0,1] neg_lo:[1,0,0] neg_hi:[1,0,0]
	v_pk_mul_f32 v[38:39], v[30:31], s[2:3] op_sel_hi:[1,0]
	v_mov_b32_e32 v33, v35
	v_mov_b32_e32 v34, v35
	;; [unrolled: 1-line block ×4, first 2 shown]
	v_pk_add_f32 v[46:47], v[22:23], v[38:39] op_sel:[0,1] op_sel_hi:[1,0] neg_lo:[0,1] neg_hi:[0,1]
	v_pk_add_f32 v[22:23], v[22:23], v[38:39] op_sel:[0,1] op_sel_hi:[1,0]
	v_pk_add_f32 v[38:39], v[40:41], v[48:49] neg_lo:[0,1] neg_hi:[0,1]
	v_pk_add_f32 v[50:51], v[34:35], v[56:57] neg_lo:[0,1] neg_hi:[0,1]
	v_mov_b32_e32 v42, v43
	v_pk_add_f32 v[38:39], v[38:39], v[50:51]
	v_pk_add_f32 v[50:51], v[54:55], v[40:41]
	v_mov_b32_e32 v43, v40
	v_pk_add_f32 v[50:51], v[50:51], v[48:49]
	v_pk_add_f32 v[42:43], v[42:43], v[32:33] neg_lo:[0,1] neg_hi:[0,1]
	v_pk_add_f32 v[50:51], v[50:51], v[56:57]
	v_pk_add_f32 v[60:61], v[48:49], v[56:57] neg_lo:[0,1] neg_hi:[0,1]
	v_pk_add_f32 v[32:33], v[50:51], v[32:33] op_sel:[1,0] op_sel_hi:[0,1]
	v_pk_add_f32 v[50:51], v[44:45], v[52:53] neg_lo:[0,1] neg_hi:[0,1]
	v_pk_add_f32 v[24:25], v[36:37], v[28:29]
	v_pk_fma_f32 v[22:23], v[50:51], s[12:13], v[22:23] op_sel:[1,0,0] op_sel_hi:[0,0,1]
	v_pk_fma_f32 v[46:47], v[50:51], s[12:13], v[46:47] op_sel:[1,0,0] op_sel_hi:[0,0,1] neg_lo:[1,0,0] neg_hi:[1,0,0]
	v_mov_b32_e32 v58, v46
	v_mov_b32_e32 v59, v23
	;; [unrolled: 1-line block ×3, first 2 shown]
	v_pk_fma_f32 v[58:59], v[26:27], s[14:15], v[58:59] op_sel_hi:[1,0,1]
	v_pk_fma_f32 v[22:23], v[26:27], s[14:15], v[22:23] op_sel_hi:[1,0,1]
	v_pk_add_f32 v[26:27], v[48:49], v[56:57]
	v_pk_fma_f32 v[24:25], v[24:25], 0.5, v[20:21] op_sel_hi:[1,0,1] neg_lo:[1,0,0] neg_hi:[1,0,0]
	v_pk_fma_f32 v[26:27], v[26:27], 0.5, v[54:55] op_sel_hi:[1,0,1] neg_lo:[1,0,0] neg_hi:[1,0,0]
	v_pk_add_f32 v[20:21], v[20:21], v[36:37]
	v_pk_fma_f32 v[46:47], v[42:43], s[2:3], v[26:27] op_sel_hi:[1,0,1]
	v_pk_fma_f32 v[26:27], v[42:43], s[2:3], v[26:27] op_sel_hi:[1,0,1] neg_lo:[1,0,0] neg_hi:[1,0,0]
	v_pk_fma_f32 v[46:47], v[60:61], s[12:13], v[46:47] op_sel:[1,0,0] op_sel_hi:[0,0,1]
	v_pk_fma_f32 v[26:27], v[60:61], s[12:13], v[26:27] op_sel:[1,0,0] op_sel_hi:[0,0,1] neg_lo:[1,0,0] neg_hi:[1,0,0]
	v_mov_b32_e32 v63, v27
	v_mov_b32_e32 v27, v47
	;; [unrolled: 1-line block ×3, first 2 shown]
	v_pk_fma_f32 v[26:27], v[38:39], s[14:15], v[26:27] op_sel_hi:[1,0,1]
	v_pk_fma_f32 v[46:47], v[38:39], s[14:15], v[62:63] op_sel_hi:[1,0,1]
	v_pk_mul_f32 v[38:39], v[26:27], s[12:13] op_sel_hi:[1,0]
	v_pk_add_f32 v[20:21], v[20:21], v[44:45]
	v_pk_fma_f32 v[62:63], v[26:27], s[20:21], v[38:39] op_sel:[0,0,1] op_sel_hi:[1,0,0]
	v_pk_fma_f32 v[26:27], v[26:27], s[20:21], v[38:39] op_sel:[0,0,1] op_sel_hi:[1,0,0] neg_lo:[0,0,1] neg_hi:[0,0,1]
	v_pk_add_f32 v[20:21], v[20:21], v[52:53]
	v_mov_b32_e32 v39, v26
	v_pk_add_f32 v[26:27], v[44:45], v[36:37] neg_lo:[0,1] neg_hi:[0,1]
	v_pk_add_f32 v[20:21], v[20:21], v[28:29]
	v_pk_add_f32 v[28:29], v[52:53], v[28:29] neg_lo:[0,1] neg_hi:[0,1]
	v_pk_mul_f32 v[30:31], v[30:31], s[12:13] op_sel_hi:[1,0]
	v_pk_add_f32 v[26:27], v[26:27], v[28:29]
	v_pk_fma_f32 v[28:29], v[50:51], s[2:3], v[24:25] op_sel:[1,0,0] op_sel_hi:[0,0,1]
	v_pk_fma_f32 v[24:25], v[50:51], s[2:3], v[24:25] op_sel:[1,0,0] op_sel_hi:[0,0,1] neg_lo:[1,0,0] neg_hi:[1,0,0]
	v_pk_add_f32 v[36:37], v[40:41], v[34:35]
	v_pk_add_f32 v[24:25], v[24:25], v[30:31] op_sel:[0,1] op_sel_hi:[1,0]
	v_pk_add_f32 v[28:29], v[28:29], v[30:31] op_sel:[0,1] op_sel_hi:[1,0] neg_lo:[0,1] neg_hi:[0,1]
	v_pk_add_f32 v[30:31], v[48:49], v[40:41] neg_lo:[0,1] neg_hi:[0,1]
	v_pk_fma_f32 v[36:37], v[36:37], 0.5, v[54:55] op_sel_hi:[1,0,1] neg_lo:[1,0,0] neg_hi:[1,0,0]
	v_pk_add_f32 v[34:35], v[56:57], v[34:35] neg_lo:[0,1] neg_hi:[0,1]
	v_mov_b32_e32 v40, v28
	v_pk_add_f32 v[30:31], v[30:31], v[34:35]
	v_pk_fma_f32 v[34:35], v[60:61], s[2:3], v[36:37] op_sel:[1,0,0] op_sel_hi:[0,0,1] neg_lo:[1,0,0] neg_hi:[1,0,0]
	v_pk_fma_f32 v[36:37], v[60:61], s[2:3], v[36:37] op_sel:[1,0,0] op_sel_hi:[0,0,1]
	v_pk_fma_f32 v[34:35], v[42:43], s[12:13], v[34:35] op_sel_hi:[1,0,1]
	v_pk_fma_f32 v[36:37], v[42:43], s[12:13], v[36:37] op_sel_hi:[1,0,1] neg_lo:[1,0,0] neg_hi:[1,0,0]
	v_mov_b32_e32 v41, v25
	v_mov_b32_e32 v25, v29
	v_pk_fma_f32 v[28:29], v[26:27], s[14:15], v[40:41] op_sel_hi:[1,0,1]
	v_pk_fma_f32 v[24:25], v[26:27], s[14:15], v[24:25] op_sel_hi:[1,0,1]
	v_mov_b32_e32 v26, v34
	v_mov_b32_e32 v27, v37
	;; [unrolled: 1-line block ×3, first 2 shown]
	v_pk_fma_f32 v[26:27], v[30:31], s[14:15], v[26:27] op_sel_hi:[1,0,1]
	v_pk_fma_f32 v[30:31], v[30:31], s[14:15], v[36:37] op_sel_hi:[1,0,1]
	s_mov_b32 s13, s18
	v_pk_mul_f32 v[34:35], v[30:31], s[2:3] op_sel_hi:[1,0]
	s_mov_b32 s3, s16
	v_pk_fma_f32 v[36:37], v[30:31], s[14:15], v[34:35] op_sel:[0,0,1] op_sel_hi:[1,0,0]
	v_pk_fma_f32 v[30:31], v[30:31], s[14:15], v[34:35] op_sel:[0,0,1] op_sel_hi:[1,0,0] neg_lo:[0,0,1] neg_hi:[0,0,1]
	v_mov_b32_e32 v38, v63
	v_mov_b32_e32 v35, v30
	v_pk_mul_f32 v[30:31], v[26:27], s[14:15] op_sel_hi:[1,0]
	v_mov_b32_e32 v34, v37
	v_pk_fma_f32 v[26:27], v[26:27], s[2:3], v[30:31] op_sel:[0,0,1] op_sel_hi:[1,1,0] neg_lo:[0,0,1] neg_hi:[0,0,1]
	s_load_dwordx2 s[2:3], s[0:1], 0x38
	v_pk_mul_f32 v[30:31], v[46:47], s[20:21] op_sel_hi:[1,0]
	v_mul_u32_u24_e32 v3, 0x64, v65
	v_pk_fma_f32 v[30:31], v[46:47], s[12:13], v[30:31] op_sel:[0,0,1] op_sel_hi:[1,1,0] neg_lo:[0,0,1] neg_hi:[0,0,1]
	s_movk_i32 s0, 0x64
	v_pk_add_f32 v[44:45], v[20:21], v[32:33]
	v_pk_add_f32 v[46:47], v[22:23], v[38:39]
	v_pk_add_f32 v[52:53], v[22:23], v[38:39] neg_lo:[0,1] neg_hi:[0,1]
	v_pk_add_f32 v[54:55], v[24:25], v[34:35] neg_lo:[0,1] neg_hi:[0,1]
	v_pk_add_f32 v[40:41], v[24:25], v[34:35]
	v_pk_add_f32 v[42:43], v[28:29], v[26:27]
	v_pk_add_f32 v[50:51], v[20:21], v[32:33] neg_lo:[0,1] neg_hi:[0,1]
	v_pk_add_f32 v[48:49], v[58:59], v[30:31]
	v_pk_add_f32 v[56:57], v[28:29], v[26:27] neg_lo:[0,1] neg_hi:[0,1]
	v_pk_add_f32 v[58:59], v[58:59], v[30:31] neg_lo:[0,1] neg_hi:[0,1]
	v_add_lshl_u32 v205, v3, v89, 3
	v_cmp_gt_u16_e64 s[0:1], s0, v204
	s_waitcnt lgkmcnt(0)
	s_barrier
	ds_write2_b64 v205, v[44:45], v[46:47] offset1:10
	ds_write2_b64 v205, v[40:41], v[42:43] offset0:20 offset1:30
	ds_write2_b64 v205, v[48:49], v[50:51] offset0:40 offset1:50
	ds_write2_b64 v205, v[52:53], v[54:55] offset0:60 offset1:70
	ds_write2_b64 v205, v[56:57], v[58:59] offset0:80 offset1:90
	s_waitcnt lgkmcnt(0)
	s_barrier
	s_waitcnt lgkmcnt(0)
                                        ; implicit-def: $vgpr60
	s_and_saveexec_b64 s[12:13], s[0:1]
	s_cbranch_execz .LBB0_3
; %bb.2:
	v_add_u32_e32 v3, 0x400, v64
	ds_read2_b64 v[44:47], v64 offset1:100
	ds_read2_b64 v[40:43], v3 offset0:72 offset1:172
	ds_read2_b64 v[48:51], v16 offset0:144 offset1:244
	v_add_u32_e32 v3, 0x1c00, v64
	ds_read2_b64 v[60:63], v3 offset0:104 offset1:204
	ds_read2_b64 v[52:55], v17 offset0:88 offset1:188
	ds_read_b64 v[98:99], v64 offset:9600
	ds_read2_b64 v[56:59], v18 offset0:32 offset1:132
	s_waitcnt lgkmcnt(3)
	v_mov_b32_e32 v100, v61
	v_mov_b32_e32 v102, v63
	s_waitcnt lgkmcnt(1)
	v_mov_b32_e32 v104, v99
.LBB0_3:
	s_or_b64 exec, exec, s[12:13]
	v_add_u32_e32 v3, 0xffffff9c, v204
	v_cndmask_b32_e64 v3, v3, v204, s[0:1]
	v_mul_hi_i32_i24_e32 v17, 0x60, v3
	v_mul_i32_i24_e32 v16, 0x60, v3
	v_lshl_add_u64 v[106:107], s[10:11], 0, v[16:17]
	global_load_dwordx4 v[20:23], v[106:107], off offset:720
	global_load_dwordx4 v[16:19], v[106:107], off offset:736
	;; [unrolled: 1-line block ×6, first 2 shown]
	s_mov_b32 s22, 0xbf7e222b
	s_mov_b32 s10, 0x3df6dbef
	;; [unrolled: 1-line block ×15, first 2 shown]
	v_mov_b32_e32 v15, v14
	v_mov_b32_e32 v97, v96
	;; [unrolled: 1-line block ×8, first 2 shown]
	s_waitcnt vmcnt(5)
	v_pk_mul_f32 v[134:135], v[46:47], v[20:21] op_sel:[1,0]
	v_pk_mul_f32 v[106:107], v[40:41], v[22:23] op_sel:[1,0]
	v_pk_fma_f32 v[138:139], v[46:47], v[20:21], v[134:135] op_sel:[0,0,1] op_sel_hi:[1,1,0] neg_lo:[0,0,1] neg_hi:[0,0,1]
	v_pk_fma_f32 v[46:47], v[46:47], v[20:21], v[134:135] op_sel:[0,0,1] op_sel_hi:[0,1,0]
	s_waitcnt vmcnt(4)
	v_pk_mul_f32 v[112:113], v[42:43], v[16:17] op_sel:[1,0]
	s_waitcnt vmcnt(0)
	v_pk_mul_f32 v[104:105], v[104:105], v[38:39] op_sel_hi:[0,1]
	v_pk_mul_f32 v[102:103], v[102:103], v[36:37] op_sel_hi:[0,1]
	v_pk_fma_f32 v[132:133], v[98:99], v[38:39], v[104:105] op_sel:[0,0,1] op_sel_hi:[1,1,0] neg_lo:[0,0,1] neg_hi:[0,0,1]
	v_pk_fma_f32 v[98:99], v[98:99], v[38:39], v[104:105] op_sel:[0,0,1] op_sel_hi:[0,1,0]
	s_waitcnt lgkmcnt(0)
	v_pk_mul_f32 v[122:123], v[56:57], v[26:27] op_sel:[1,0]
	v_pk_mul_f32 v[128:129], v[58:59], v[32:33] op_sel:[1,0]
	v_pk_mul_f32 v[100:101], v[100:101], v[34:35] op_sel_hi:[0,1]
	v_pk_fma_f32 v[108:109], v[40:41], v[22:23], v[106:107] op_sel:[0,0,1] op_sel_hi:[1,1,0] neg_lo:[0,0,1] neg_hi:[0,0,1]
	v_pk_fma_f32 v[40:41], v[40:41], v[22:23], v[106:107] op_sel:[0,0,1] op_sel_hi:[0,1,0]
	v_pk_fma_f32 v[130:131], v[62:63], v[36:37], v[102:103] op_sel:[0,0,1] op_sel_hi:[1,1,0] neg_lo:[0,0,1] neg_hi:[0,0,1]
	v_pk_fma_f32 v[62:63], v[62:63], v[36:37], v[102:103] op_sel:[0,0,1] op_sel_hi:[0,1,0]
	v_mov_b32_e32 v139, v47
	v_mov_b32_e32 v133, v99
	v_pk_mul_f32 v[114:115], v[48:49], v[18:19] op_sel:[1,0]
	v_pk_mul_f32 v[116:117], v[50:51], v[28:29] op_sel:[1,0]
	;; [unrolled: 1-line block ×4, first 2 shown]
	v_pk_fma_f32 v[110:111], v[42:43], v[16:17], v[112:113] op_sel:[0,0,1] op_sel_hi:[1,1,0] neg_lo:[0,0,1] neg_hi:[0,0,1]
	v_pk_fma_f32 v[42:43], v[42:43], v[16:17], v[112:113] op_sel:[0,0,1] op_sel_hi:[0,1,0]
	v_pk_fma_f32 v[124:125], v[56:57], v[26:27], v[122:123] op_sel:[0,0,1] op_sel_hi:[1,1,0] neg_lo:[0,0,1] neg_hi:[0,0,1]
	v_pk_fma_f32 v[56:57], v[56:57], v[26:27], v[122:123] op_sel:[0,0,1] op_sel_hi:[0,1,0]
	;; [unrolled: 2-line block ×4, first 2 shown]
	v_mov_b32_e32 v109, v41
	v_mov_b32_e32 v131, v63
	v_pk_add_f32 v[140:141], v[138:139], v[132:133] neg_lo:[0,1] neg_hi:[0,1]
	v_pk_fma_f32 v[112:113], v[48:49], v[18:19], v[114:115] op_sel:[0,0,1] op_sel_hi:[1,1,0] neg_lo:[0,0,1] neg_hi:[0,0,1]
	v_pk_fma_f32 v[48:49], v[48:49], v[18:19], v[114:115] op_sel:[0,0,1] op_sel_hi:[0,1,0]
	v_pk_fma_f32 v[114:115], v[50:51], v[28:29], v[116:117] op_sel:[0,0,1] op_sel_hi:[1,1,0] neg_lo:[0,0,1] neg_hi:[0,0,1]
	v_pk_fma_f32 v[50:51], v[50:51], v[28:29], v[116:117] op_sel:[0,0,1] op_sel_hi:[0,1,0]
	v_pk_fma_f32 v[116:117], v[52:53], v[30:31], v[118:119] op_sel:[0,0,1] op_sel_hi:[1,1,0] neg_lo:[0,0,1] neg_hi:[0,0,1]
	v_pk_fma_f32 v[52:53], v[52:53], v[30:31], v[118:119] op_sel:[0,0,1] op_sel_hi:[0,1,0]
	v_pk_fma_f32 v[118:119], v[54:55], v[24:25], v[120:121] op_sel:[0,0,1] op_sel_hi:[1,1,0] neg_lo:[0,0,1] neg_hi:[0,0,1]
	v_pk_fma_f32 v[54:55], v[54:55], v[24:25], v[120:121] op_sel:[0,0,1] op_sel_hi:[0,1,0]
	v_mov_b32_e32 v111, v43
	v_mov_b32_e32 v125, v57
	;; [unrolled: 1-line block ×3, first 2 shown]
	v_pk_add_f32 v[56:57], v[138:139], v[132:133]
	v_pk_add_f32 v[142:143], v[108:109], v[130:131] neg_lo:[0,1] neg_hi:[0,1]
	v_pk_mul_f32 v[40:41], v[140:141], s[22:23] op_sel:[1,0] op_sel_hi:[0,0]
	v_mov_b32_e32 v113, v49
	v_mov_b32_e32 v119, v55
	;; [unrolled: 1-line block ×3, first 2 shown]
	v_pk_add_f32 v[54:55], v[108:109], v[130:131]
	v_pk_add_f32 v[144:145], v[110:111], v[128:129] neg_lo:[0,1] neg_hi:[0,1]
	v_pk_mul_f32 v[42:43], v[142:143], s[16:17] op_sel:[1,0] op_sel_hi:[0,0]
	v_pk_fma_f32 v[104:105], v[56:57], s[10:11], v[40:41] op_sel_hi:[1,0,1]
	v_pk_fma_f32 v[106:107], v[56:57], s[10:11], v[40:41] op_sel_hi:[1,0,1] neg_lo:[0,0,1] neg_hi:[0,0,1]
	v_mov_b32_e32 v117, v53
	v_pk_add_f32 v[52:53], v[110:111], v[128:129]
	v_pk_add_f32 v[146:147], v[112:113], v[126:127] neg_lo:[0,1] neg_hi:[0,1]
	v_pk_mul_f32 v[46:47], v[144:145], s[24:25] op_sel:[1,0] op_sel_hi:[0,0]
	v_pk_fma_f32 v[100:101], v[54:55], s[12:13], v[42:43] op_sel_hi:[1,0,1]
	v_pk_fma_f32 v[102:103], v[54:55], s[12:13], v[42:43] op_sel_hi:[1,0,1] neg_lo:[0,0,1] neg_hi:[0,0,1]
	v_mov_b32_e32 v40, v104
	v_mov_b32_e32 v41, v107
	;; [unrolled: 1-line block ×3, first 2 shown]
	v_pk_add_f32 v[50:51], v[112:113], v[126:127]
	v_pk_mul_f32 v[48:49], v[146:147], s[20:21] op_sel:[1,0] op_sel_hi:[0,0]
	v_pk_fma_f32 v[62:63], v[52:53], s[14:15], v[46:47] op_sel_hi:[1,0,1]
	v_pk_fma_f32 v[98:99], v[52:53], s[14:15], v[46:47] op_sel_hi:[1,0,1] neg_lo:[0,0,1] neg_hi:[0,0,1]
	v_mov_b32_e32 v42, v100
	v_mov_b32_e32 v43, v103
	v_pk_add_f32 v[40:41], v[44:45], v[40:41]
	v_mov_b32_e32 v46, v62
	v_mov_b32_e32 v47, v99
	v_pk_add_f32 v[40:41], v[42:43], v[40:41]
	v_pk_fma_f32 v[120:121], v[50:51], s[18:19], v[48:49] op_sel_hi:[1,0,1]
	v_pk_fma_f32 v[122:123], v[50:51], s[18:19], v[48:49] op_sel_hi:[1,0,1] neg_lo:[0,0,1] neg_hi:[0,0,1]
	v_pk_add_f32 v[40:41], v[46:47], v[40:41]
	v_mov_b32_e32 v42, v120
	v_mov_b32_e32 v43, v123
	v_pk_add_f32 v[148:149], v[114:115], v[124:125] neg_lo:[0,1] neg_hi:[0,1]
	v_pk_add_f32 v[40:41], v[42:43], v[40:41]
	s_mov_b32 s24, 0x3f116cb1
	v_pk_add_f32 v[58:59], v[114:115], v[124:125]
	v_pk_mul_f32 v[42:43], v[148:149], s[28:29] op_sel:[1,0] op_sel_hi:[0,0]
	v_pk_fma_f32 v[134:135], v[58:59], s[24:25], v[42:43] op_sel_hi:[1,0,1]
	v_pk_fma_f32 v[136:137], v[58:59], s[24:25], v[42:43] op_sel_hi:[1,0,1] neg_lo:[0,0,1] neg_hi:[0,0,1]
	v_mov_b32_e32 v42, v134
	v_mov_b32_e32 v43, v137
	v_pk_add_f32 v[40:41], v[42:43], v[40:41]
	v_pk_mul_f32 v[42:43], v[140:141], s[28:29] op_sel:[1,0] op_sel_hi:[0,0]
	v_pk_fma_f32 v[150:151], v[56:57], s[24:25], v[42:43] op_sel_hi:[1,0,1]
	v_pk_fma_f32 v[152:153], v[56:57], s[24:25], v[42:43] op_sel_hi:[1,0,1] neg_lo:[0,0,1] neg_hi:[0,0,1]
	v_pk_mul_f32 v[46:47], v[142:143], s[26:27] op_sel:[1,0] op_sel_hi:[0,0]
	v_mov_b32_e32 v42, v150
	v_mov_b32_e32 v43, v153
	v_pk_fma_f32 v[154:155], v[54:55], s[14:15], v[46:47] op_sel_hi:[1,0,1]
	v_pk_fma_f32 v[156:157], v[54:55], s[14:15], v[46:47] op_sel_hi:[1,0,1] neg_lo:[0,0,1] neg_hi:[0,0,1]
	v_pk_add_f32 v[42:43], v[44:45], v[42:43]
	v_mov_b32_e32 v46, v154
	v_mov_b32_e32 v47, v157
	v_pk_add_f32 v[42:43], v[46:47], v[42:43]
	v_pk_mul_f32 v[46:47], v[144:145], s[16:17] op_sel:[1,0] op_sel_hi:[0,0]
	v_pk_fma_f32 v[158:159], v[52:53], s[12:13], v[46:47] op_sel_hi:[1,0,1]
	v_pk_fma_f32 v[160:161], v[52:53], s[12:13], v[46:47] op_sel_hi:[1,0,1] neg_lo:[0,0,1] neg_hi:[0,0,1]
	v_mov_b32_e32 v46, v158
	v_mov_b32_e32 v47, v161
	v_pk_add_f32 v[42:43], v[46:47], v[42:43]
	v_pk_mul_f32 v[46:47], v[146:147], s[40:41] op_sel:[1,0] op_sel_hi:[0,0]
	v_pk_fma_f32 v[166:167], v[50:51], s[36:37], v[46:47] op_sel_hi:[1,0,1]
	v_pk_fma_f32 v[168:169], v[50:51], s[36:37], v[46:47] op_sel_hi:[1,0,1] neg_lo:[0,0,1] neg_hi:[0,0,1]
	;; [unrolled: 6-line block ×3, first 2 shown]
	v_mov_b32_e32 v46, v170
	v_mov_b32_e32 v47, v173
	v_pk_add_f32 v[178:179], v[116:117], v[118:119] neg_lo:[0,1] neg_hi:[0,1]
	v_pk_add_f32 v[42:43], v[46:47], v[42:43]
	v_pk_add_f32 v[60:61], v[116:117], v[118:119]
	v_pk_mul_f32 v[46:47], v[178:179], s[20:21] op_sel:[1,0] op_sel_hi:[0,0]
	v_pk_fma_f32 v[174:175], v[60:61], s[18:19], v[46:47] op_sel_hi:[1,0,1]
	v_pk_fma_f32 v[176:177], v[60:61], s[18:19], v[46:47] op_sel_hi:[1,0,1] neg_lo:[0,0,1] neg_hi:[0,0,1]
	v_mov_b32_e32 v46, v174
	v_mov_b32_e32 v47, v177
	v_pk_add_f32 v[42:43], v[46:47], v[42:43]
	v_pk_mul_f32 v[46:47], v[178:179], s[38:39] op_sel:[1,0] op_sel_hi:[0,0]
	v_pk_fma_f32 v[162:163], v[60:61], s[36:37], v[46:47] op_sel_hi:[1,0,1]
	v_pk_fma_f32 v[164:165], v[60:61], s[36:37], v[46:47] op_sel_hi:[1,0,1] neg_lo:[0,0,1] neg_hi:[0,0,1]
	v_mov_b32_e32 v46, v162
	v_mov_b32_e32 v47, v165
	v_pk_add_f32 v[40:41], v[46:47], v[40:41]
	v_pk_mul_f32 v[46:47], v[140:141], s[34:35] op_sel:[1,0] op_sel_hi:[0,0]
	v_pk_fma_f32 v[180:181], v[56:57], s[18:19], v[46:47] op_sel_hi:[1,0,1]
	v_pk_fma_f32 v[182:183], v[56:57], s[18:19], v[46:47] op_sel_hi:[1,0,1] neg_lo:[0,0,1] neg_hi:[0,0,1]
	v_pk_mul_f32 v[48:49], v[142:143], s[28:29] op_sel:[1,0] op_sel_hi:[0,0]
	v_mov_b32_e32 v46, v180
	v_mov_b32_e32 v47, v183
	v_pk_fma_f32 v[184:185], v[54:55], s[24:25], v[48:49] op_sel_hi:[1,0,1]
	v_pk_fma_f32 v[186:187], v[54:55], s[24:25], v[48:49] op_sel_hi:[1,0,1] neg_lo:[0,0,1] neg_hi:[0,0,1]
	v_pk_add_f32 v[46:47], v[44:45], v[46:47]
	v_mov_b32_e32 v48, v184
	v_mov_b32_e32 v49, v187
	v_pk_add_f32 v[46:47], v[48:49], v[46:47]
	v_pk_mul_f32 v[48:49], v[144:145], s[22:23] op_sel:[1,0] op_sel_hi:[0,0]
	v_pk_fma_f32 v[188:189], v[52:53], s[10:11], v[48:49] op_sel_hi:[1,0,1]
	v_pk_fma_f32 v[190:191], v[52:53], s[10:11], v[48:49] op_sel_hi:[1,0,1] neg_lo:[0,0,1] neg_hi:[0,0,1]
	v_mov_b32_e32 v48, v188
	v_mov_b32_e32 v49, v191
	v_pk_add_f32 v[46:47], v[48:49], v[46:47]
	v_pk_mul_f32 v[48:49], v[146:147], s[26:27] op_sel:[1,0] op_sel_hi:[0,0]
	v_pk_fma_f32 v[192:193], v[50:51], s[14:15], v[48:49] op_sel_hi:[1,0,1]
	v_pk_fma_f32 v[194:195], v[50:51], s[14:15], v[48:49] op_sel_hi:[1,0,1] neg_lo:[0,0,1] neg_hi:[0,0,1]
	;; [unrolled: 6-line block ×4, first 2 shown]
	v_mov_b32_e32 v48, v200
	v_mov_b32_e32 v49, v203
	v_pk_add_f32 v[48:49], v[48:49], v[46:47]
	v_mov_b32_e32 v46, v94
	v_mov_b32_e32 v47, v94
	;; [unrolled: 1-line block ×3, first 2 shown]
	s_and_saveexec_b64 s[34:35], s[0:1]
	s_cbranch_execz .LBB0_5
; %bb.4:
	v_pk_add_f32 v[138:139], v[44:45], v[138:139]
	v_mov_b32_e32 v183, v181
	v_pk_add_f32 v[108:109], v[138:139], v[108:109]
	v_mov_b32_e32 v187, v185
	v_pk_add_f32 v[108:109], v[108:109], v[110:111]
	v_pk_add_f32 v[110:111], v[44:45], v[182:183]
	;; [unrolled: 1-line block ×5, first 2 shown]
	v_mov_b32_e32 v191, v189
	v_pk_add_f32 v[108:109], v[108:109], v[116:117]
	v_pk_add_f32 v[110:111], v[190:191], v[110:111]
	v_pk_add_f32 v[108:109], v[108:109], v[118:119]
	v_mov_b32_e32 v195, v193
	v_pk_add_f32 v[108:109], v[108:109], v[124:125]
	v_pk_add_f32 v[110:111], v[194:195], v[110:111]
	v_pk_add_f32 v[108:109], v[108:109], v[126:127]
	;; [unrolled: 4-line block ×3, first 2 shown]
	v_mov_b32_e32 v203, v201
	v_pk_add_f32 v[108:109], v[108:109], v[132:133]
	v_pk_add_f32 v[110:111], v[202:203], v[110:111]
	v_mov_b32_e32 v153, v151
	v_mov_b32_e32 v107, v105
	ds_write2_b64 v64, v[108:109], v[110:111] offset1:100
	v_pk_add_f32 v[108:109], v[44:45], v[152:153]
	v_mov_b32_e32 v157, v155
	v_pk_add_f32 v[104:105], v[44:45], v[106:107]
	v_mov_b32_e32 v103, v101
	;; [unrolled: 2-line block ×10, first 2 shown]
	v_mov_b32_e32 v206, v141
	v_mov_b32_e32 v207, v140
	v_pk_add_f32 v[108:109], v[176:177], v[108:109]
	v_pk_add_f32 v[62:63], v[164:165], v[62:63]
	v_add_u32_e32 v65, 0x400, v64
	v_mov_b32_e32 v140, v143
	v_mov_b32_e32 v141, v142
	ds_write2_b64 v65, v[108:109], v[62:63] offset0:72 offset1:172
	v_pk_mul_f32 v[62:63], v[206:207], s[26:27] op_sel_hi:[1,0]
	v_pk_mul_f32 v[102:103], v[140:141], s[40:41] op_sel_hi:[1,0]
	v_pk_fma_f32 v[98:99], v[56:57], s[14:15], v[62:63] op_sel_hi:[1,0,1] neg_lo:[0,0,1] neg_hi:[0,0,1]
	v_pk_fma_f32 v[62:63], v[56:57], s[14:15], v[62:63] op_sel_hi:[1,0,1]
	v_mov_b32_e32 v100, v98
	v_mov_b32_e32 v101, v63
	v_pk_fma_f32 v[104:105], v[54:55], s[36:37], v[102:103] op_sel_hi:[1,0,1] neg_lo:[0,0,1] neg_hi:[0,0,1]
	v_pk_fma_f32 v[102:103], v[54:55], s[36:37], v[102:103] op_sel_hi:[1,0,1]
	v_mov_b32_e32 v142, v145
	v_mov_b32_e32 v143, v144
	v_pk_add_f32 v[100:101], v[44:45], v[100:101]
	v_mov_b32_e32 v106, v104
	v_mov_b32_e32 v107, v103
	v_pk_add_f32 v[100:101], v[106:107], v[100:101]
	v_pk_mul_f32 v[106:107], v[142:143], s[20:21] op_sel_hi:[1,0]
	v_mov_b32_e32 v144, v147
	v_pk_fma_f32 v[108:109], v[52:53], s[18:19], v[106:107] op_sel_hi:[1,0,1] neg_lo:[0,0,1] neg_hi:[0,0,1]
	v_pk_fma_f32 v[106:107], v[52:53], s[18:19], v[106:107] op_sel_hi:[1,0,1]
	v_mov_b32_e32 v145, v146
	v_mov_b32_e32 v110, v108
	;; [unrolled: 1-line block ×3, first 2 shown]
	v_pk_add_f32 v[100:101], v[110:111], v[100:101]
	v_pk_mul_f32 v[110:111], v[144:145], s[22:23] op_sel_hi:[1,0]
	v_mov_b32_e32 v146, v149
	v_pk_fma_f32 v[112:113], v[50:51], s[10:11], v[110:111] op_sel_hi:[1,0,1] neg_lo:[0,0,1] neg_hi:[0,0,1]
	v_pk_fma_f32 v[110:111], v[50:51], s[10:11], v[110:111] op_sel_hi:[1,0,1]
	v_mov_b32_e32 v147, v148
	v_mov_b32_e32 v114, v112
	v_mov_b32_e32 v115, v111
	s_mov_b32 s22, 0x3e750f2a
	v_pk_add_f32 v[100:101], v[114:115], v[100:101]
	v_pk_mul_f32 v[114:115], v[146:147], s[22:23] op_sel_hi:[1,0]
	v_mov_b32_e32 v148, v179
	v_pk_fma_f32 v[116:117], v[58:59], s[12:13], v[114:115] op_sel_hi:[1,0,1] neg_lo:[0,0,1] neg_hi:[0,0,1]
	v_pk_fma_f32 v[114:115], v[58:59], s[12:13], v[114:115] op_sel_hi:[1,0,1]
	v_mov_b32_e32 v149, v178
	v_mov_b32_e32 v118, v116
	;; [unrolled: 1-line block ×3, first 2 shown]
	s_mov_b32 s40, 0x3f52af12
	v_pk_add_f32 v[100:101], v[118:119], v[100:101]
	v_pk_mul_f32 v[118:119], v[148:149], s[40:41] op_sel_hi:[1,0]
	v_pk_mul_f32 v[128:129], v[140:141], s[30:31] op_sel_hi:[1,0]
	v_pk_fma_f32 v[120:121], v[60:61], s[24:25], v[118:119] op_sel_hi:[1,0,1] neg_lo:[0,0,1] neg_hi:[0,0,1]
	v_pk_fma_f32 v[118:119], v[60:61], s[24:25], v[118:119] op_sel_hi:[1,0,1]
	v_mov_b32_e32 v122, v120
	v_mov_b32_e32 v123, v119
	v_pk_add_f32 v[100:101], v[122:123], v[100:101]
	v_pk_mul_f32 v[122:123], v[206:207], s[38:39] op_sel_hi:[1,0]
	v_pk_fma_f32 v[130:131], v[54:55], s[10:11], v[128:129] op_sel_hi:[1,0,1] neg_lo:[0,0,1] neg_hi:[0,0,1]
	v_pk_fma_f32 v[124:125], v[56:57], s[36:37], v[122:123] op_sel_hi:[1,0,1] neg_lo:[0,0,1] neg_hi:[0,0,1]
	v_pk_fma_f32 v[122:123], v[56:57], s[36:37], v[122:123] op_sel_hi:[1,0,1]
	v_mov_b32_e32 v126, v124
	v_mov_b32_e32 v127, v123
	v_pk_fma_f32 v[128:129], v[54:55], s[10:11], v[128:129] op_sel_hi:[1,0,1]
	v_pk_add_f32 v[126:127], v[44:45], v[126:127]
	v_mov_b32_e32 v132, v130
	v_mov_b32_e32 v133, v129
	v_pk_add_f32 v[126:127], v[132:133], v[126:127]
	v_pk_mul_f32 v[132:133], v[142:143], s[28:29] op_sel_hi:[1,0]
	v_add_u32_e32 v63, 0x800, v64
	v_pk_fma_f32 v[134:135], v[52:53], s[24:25], v[132:133] op_sel_hi:[1,0,1] neg_lo:[0,0,1] neg_hi:[0,0,1]
	v_pk_fma_f32 v[132:133], v[52:53], s[24:25], v[132:133] op_sel_hi:[1,0,1]
	v_mov_b32_e32 v136, v134
	v_mov_b32_e32 v137, v133
	v_pk_add_f32 v[126:127], v[136:137], v[126:127]
	v_pk_mul_f32 v[136:137], v[144:145], s[22:23] op_sel_hi:[1,0]
	v_pk_mul_f32 v[140:141], v[140:141], s[20:21] op_sel_hi:[1,0]
	v_pk_fma_f32 v[138:139], v[50:51], s[12:13], v[136:137] op_sel_hi:[1,0,1] neg_lo:[0,0,1] neg_hi:[0,0,1]
	v_pk_fma_f32 v[136:137], v[50:51], s[12:13], v[136:137] op_sel_hi:[1,0,1]
	v_mov_b32_e32 v150, v138
	v_mov_b32_e32 v151, v137
	v_pk_add_f32 v[126:127], v[150:151], v[126:127]
	v_pk_mul_f32 v[150:151], v[146:147], s[20:21] op_sel_hi:[1,0]
	v_mov_b32_e32 v123, v125
	v_pk_fma_f32 v[152:153], v[58:59], s[18:19], v[150:151] op_sel_hi:[1,0,1] neg_lo:[0,0,1] neg_hi:[0,0,1]
	v_pk_fma_f32 v[150:151], v[58:59], s[18:19], v[150:151] op_sel_hi:[1,0,1]
	v_mov_b32_e32 v154, v152
	v_mov_b32_e32 v155, v151
	v_pk_add_f32 v[126:127], v[154:155], v[126:127]
	v_pk_mul_f32 v[154:155], v[148:149], s[26:27] op_sel_hi:[1,0]
	v_mov_b32_e32 v129, v131
	v_pk_fma_f32 v[156:157], v[60:61], s[14:15], v[154:155] op_sel_hi:[1,0,1] neg_lo:[0,0,1] neg_hi:[0,0,1]
	v_pk_fma_f32 v[154:155], v[60:61], s[14:15], v[154:155] op_sel_hi:[1,0,1]
	v_mov_b32_e32 v158, v156
	v_mov_b32_e32 v159, v155
	v_pk_add_f32 v[126:127], v[158:159], v[126:127]
	ds_write2_b64 v63, v[100:101], v[126:127] offset0:144 offset1:244
	v_pk_mul_f32 v[100:101], v[206:207], s[16:17] op_sel_hi:[1,0]
	v_pk_fma_f32 v[158:159], v[54:55], s[18:19], v[140:141] op_sel_hi:[1,0,1] neg_lo:[0,0,1] neg_hi:[0,0,1]
	v_pk_fma_f32 v[126:127], v[56:57], s[12:13], v[100:101] op_sel_hi:[1,0,1] neg_lo:[0,0,1] neg_hi:[0,0,1]
	v_pk_fma_f32 v[56:57], v[56:57], s[12:13], v[100:101] op_sel_hi:[1,0,1]
	v_mov_b32_e32 v100, v126
	v_mov_b32_e32 v101, v57
	v_pk_fma_f32 v[54:55], v[54:55], s[18:19], v[140:141] op_sel_hi:[1,0,1]
	v_pk_add_f32 v[100:101], v[44:45], v[100:101]
	v_mov_b32_e32 v140, v158
	v_mov_b32_e32 v141, v55
	v_pk_add_f32 v[100:101], v[140:141], v[100:101]
	v_pk_mul_f32 v[140:141], v[142:143], s[38:39] op_sel_hi:[1,0]
	v_mov_b32_e32 v57, v127
	v_pk_fma_f32 v[142:143], v[52:53], s[36:37], v[140:141] op_sel_hi:[1,0,1] neg_lo:[0,0,1] neg_hi:[0,0,1]
	v_pk_fma_f32 v[52:53], v[52:53], s[36:37], v[140:141] op_sel_hi:[1,0,1]
	v_mov_b32_e32 v140, v142
	v_mov_b32_e32 v141, v53
	v_pk_add_f32 v[100:101], v[140:141], v[100:101]
	v_pk_mul_f32 v[140:141], v[144:145], s[40:41] op_sel_hi:[1,0]
	v_pk_add_f32 v[56:57], v[44:45], v[56:57]
	v_pk_fma_f32 v[144:145], v[50:51], s[24:25], v[140:141] op_sel_hi:[1,0,1] neg_lo:[0,0,1] neg_hi:[0,0,1]
	v_pk_fma_f32 v[50:51], v[50:51], s[24:25], v[140:141] op_sel_hi:[1,0,1]
	v_mov_b32_e32 v140, v144
	v_mov_b32_e32 v141, v51
	v_pk_add_f32 v[100:101], v[140:141], v[100:101]
	v_pk_mul_f32 v[140:141], v[146:147], s[26:27] op_sel_hi:[1,0]
	v_mov_b32_e32 v55, v159
	v_pk_fma_f32 v[146:147], v[58:59], s[14:15], v[140:141] op_sel_hi:[1,0,1] neg_lo:[0,0,1] neg_hi:[0,0,1]
	v_pk_fma_f32 v[58:59], v[58:59], s[14:15], v[140:141] op_sel_hi:[1,0,1]
	v_mov_b32_e32 v140, v146
	v_mov_b32_e32 v141, v59
	v_pk_add_f32 v[54:55], v[54:55], v[56:57]
	v_mov_b32_e32 v53, v143
	v_pk_add_f32 v[100:101], v[140:141], v[100:101]
	v_pk_mul_f32 v[140:141], v[148:149], s[30:31] op_sel_hi:[1,0]
	v_pk_add_f32 v[52:53], v[52:53], v[54:55]
	v_mov_b32_e32 v51, v145
	v_pk_fma_f32 v[148:149], v[60:61], s[10:11], v[140:141] op_sel_hi:[1,0,1] neg_lo:[0,0,1] neg_hi:[0,0,1]
	v_pk_fma_f32 v[60:61], v[60:61], s[10:11], v[140:141] op_sel_hi:[1,0,1]
	v_pk_add_f32 v[50:51], v[50:51], v[52:53]
	v_mov_b32_e32 v59, v147
	v_mov_b32_e32 v140, v148
	;; [unrolled: 1-line block ×3, first 2 shown]
	v_pk_add_f32 v[50:51], v[58:59], v[50:51]
	v_mov_b32_e32 v61, v149
	v_pk_add_f32 v[100:101], v[140:141], v[100:101]
	v_pk_add_f32 v[50:51], v[60:61], v[50:51]
	v_add_u32_e32 v52, 0x1000, v64
	v_mov_b32_e32 v63, v99
	ds_write2_b64 v52, v[100:101], v[50:51] offset0:88 offset1:188
	v_pk_add_f32 v[50:51], v[44:45], v[122:123]
	v_pk_add_f32 v[44:45], v[44:45], v[62:63]
	v_mov_b32_e32 v103, v105
	v_pk_add_f32 v[50:51], v[128:129], v[50:51]
	v_mov_b32_e32 v133, v135
	;; [unrolled: 2-line block ×9, first 2 shown]
	v_pk_add_f32 v[50:51], v[154:155], v[50:51]
	v_pk_add_f32 v[44:45], v[118:119], v[44:45]
	v_add_u32_e32 v52, 0x1800, v64
	ds_write2_b64 v52, v[50:51], v[44:45] offset0:32 offset1:132
	v_add_u32_e32 v44, 0x1c00, v64
	ds_write2_b64 v44, v[40:41], v[42:43] offset0:104 offset1:204
	ds_write_b64 v64, v[48:49] offset:9600
.LBB0_5:
	s_or_b64 exec, exec, s[34:35]
	v_mov_b32_e32 v65, 0
	v_lshl_add_u64 v[44:45], s[8:9], 0, v[64:65]
	s_mov_b64 s[8:9], 0x28a0
	v_lshl_add_u64 v[50:51], v[44:45], 0, s[8:9]
	s_waitcnt lgkmcnt(0)
	s_barrier
	v_add_co_u32_e32 v52, vcc, 0x2000, v44
	global_load_dwordx2 v[58:59], v[50:51], off offset:1040
	s_nop 0
	v_addc_co_u32_e32 v53, vcc, 0, v45, vcc
	global_load_dwordx2 v[60:61], v[52:53], off offset:2208
	global_load_dwordx2 v[62:63], v[50:51], off offset:2080
	;; [unrolled: 1-line block ×3, first 2 shown]
	s_movk_i32 s8, 0x3000
	v_add_co_u32_e32 v50, vcc, s8, v44
	s_movk_i32 s8, 0x4000
	s_nop 0
	v_addc_co_u32_e32 v51, vcc, 0, v45, vcc
	v_add_co_u32_e32 v44, vcc, s8, v44
	global_load_dwordx2 v[108:109], v[50:51], off offset:2272
	global_load_dwordx2 v[110:111], v[50:51], off offset:3312
	v_addc_co_u32_e32 v45, vcc, 0, v45, vcc
	global_load_dwordx2 v[112:113], v[44:45], off offset:256
	global_load_dwordx2 v[114:115], v[44:45], off offset:1296
	;; [unrolled: 1-line block ×4, first 2 shown]
	ds_read2_b64 v[54:57], v64 offset1:130
	v_add_u32_e32 v52, 0x800, v64
	v_add_u32_e32 v51, 0x1000, v64
	;; [unrolled: 1-line block ×3, first 2 shown]
	s_mov_b32 s10, 0x3f737871
	s_mov_b32 s8, 0x3f167918
	;; [unrolled: 1-line block ×10, first 2 shown]
	s_waitcnt vmcnt(9) lgkmcnt(0)
	v_mul_f32_e32 v44, v57, v59
	v_mul_f32_e32 v45, v56, v59
	s_waitcnt vmcnt(8)
	v_mul_f32_e32 v53, v55, v61
	v_mul_f32_e32 v59, v54, v61
	v_fma_f32 v44, v56, v58, -v44
	v_fmac_f32_e32 v45, v57, v58
	v_fma_f32 v58, v54, v60, -v53
	v_fmac_f32_e32 v59, v55, v60
	ds_write2_b64 v64, v[58:59], v[44:45] offset1:130
	ds_read2_b64 v[54:57], v52 offset0:4 offset1:134
	v_add_u32_e32 v53, 0x2000, v64
	ds_read2_b64 v[58:61], v51 offset0:8 offset1:138
	ds_read2_b64 v[98:101], v50 offset0:12 offset1:142
	;; [unrolled: 1-line block ×3, first 2 shown]
	s_waitcnt vmcnt(7) lgkmcnt(3)
	v_mul_f32_e32 v44, v55, v63
	v_mul_f32_e32 v45, v54, v63
	s_waitcnt vmcnt(6)
	v_mul_f32_e32 v65, v57, v107
	v_mul_f32_e32 v63, v56, v107
	s_waitcnt vmcnt(5) lgkmcnt(2)
	v_mul_f32_e32 v120, v59, v109
	v_mul_f32_e32 v107, v58, v109
	s_waitcnt vmcnt(4)
	v_mul_f32_e32 v121, v61, v111
	v_mul_f32_e32 v109, v60, v111
	;; [unrolled: 6-line block ×4, first 2 shown]
	v_fma_f32 v44, v54, v62, -v44
	v_fmac_f32_e32 v45, v55, v62
	v_fma_f32 v62, v56, v106, -v65
	v_fmac_f32_e32 v63, v57, v106
	v_fma_f32 v106, v58, v108, -v120
	v_fmac_f32_e32 v107, v59, v108
	v_fma_f32 v108, v60, v110, -v121
	v_fmac_f32_e32 v109, v61, v110
	v_fma_f32 v110, v98, v112, -v122
	v_fmac_f32_e32 v111, v99, v112
	v_fma_f32 v112, v100, v114, -v123
	v_fmac_f32_e32 v113, v101, v114
	v_fma_f32 v114, v102, v116, -v124
	v_fmac_f32_e32 v115, v103, v116
	v_fma_f32 v116, v104, v118, -v125
	v_fmac_f32_e32 v117, v105, v118
	ds_write2_b64 v52, v[44:45], v[62:63] offset0:4 offset1:134
	ds_write2_b64 v51, v[106:107], v[108:109] offset0:8 offset1:138
	;; [unrolled: 1-line block ×4, first 2 shown]
	s_waitcnt lgkmcnt(0)
	s_barrier
	ds_read2_b64 v[54:57], v64 offset1:130
	ds_read2_b64 v[58:61], v52 offset0:4 offset1:134
	ds_read2_b64 v[98:101], v53 offset0:16 offset1:146
	;; [unrolled: 1-line block ×4, first 2 shown]
	s_waitcnt lgkmcnt(0)
	v_mov_b32_e32 v112, v60
	v_mov_b32_e32 v113, v100
	;; [unrolled: 1-line block ×4, first 2 shown]
	v_pk_add_f32 v[62:63], v[60:61], v[100:101]
	v_pk_add_f32 v[110:111], v[110:111], v[112:113] neg_lo:[0,1] neg_hi:[0,1]
	v_pk_add_f32 v[116:117], v[102:103], v[106:107]
	v_pk_add_f32 v[118:119], v[58:59], v[98:99] neg_lo:[0,1] neg_hi:[0,1]
	v_fma_f32 v65, -0.5, v62, v56
	v_mov_b32_e32 v62, v111
	v_pk_fma_f32 v[116:117], v[116:117], 0.5, v[54:55] op_sel_hi:[1,0,1] neg_lo:[1,0,0] neg_hi:[1,0,0]
	v_pk_mul_f32 v[120:121], v[118:119], s[10:11] op_sel_hi:[1,0]
	v_pk_add_f32 v[122:123], v[102:103], v[106:107] neg_lo:[0,1] neg_hi:[0,1]
	v_pk_add_f32 v[126:127], v[58:59], v[102:103] neg_lo:[0,1] neg_hi:[0,1]
	;; [unrolled: 1-line block ×3, first 2 shown]
	v_pk_add_f32 v[112:113], v[110:111], v[62:63]
	v_pk_add_f32 v[110:111], v[56:57], v[60:61]
	v_pk_mul_f32 v[124:125], v[122:123], s[8:9] op_sel_hi:[1,0]
	v_pk_add_f32 v[126:127], v[126:127], v[128:129]
	v_pk_add_f32 v[128:129], v[116:117], v[120:121] op_sel:[0,1] op_sel_hi:[1,0] neg_lo:[0,1] neg_hi:[0,1]
	v_pk_add_f32 v[110:111], v[110:111], v[104:105]
	v_pk_add_f32 v[116:117], v[116:117], v[120:121] op_sel:[0,1] op_sel_hi:[1,0]
	v_pk_add_f32 v[120:121], v[128:129], v[124:125] op_sel:[0,1] op_sel_hi:[1,0] neg_lo:[0,1] neg_hi:[0,1]
	v_pk_add_f32 v[128:129], v[104:105], v[108:109]
	v_pk_add_f32 v[110:111], v[110:111], v[108:109]
	v_fma_f32 v138, -0.5, v63, v57
	v_pk_fma_f32 v[56:57], v[128:129], 0.5, v[56:57] op_sel_hi:[1,0,1] neg_lo:[1,0,0] neg_hi:[1,0,0]
	v_pk_add_f32 v[128:129], v[60:61], v[100:101] neg_lo:[0,1] neg_hi:[0,1]
	v_pk_add_f32 v[114:115], v[110:111], v[100:101]
	v_mov_b32_e32 v62, v105
	v_mov_b32_e32 v63, v109
	;; [unrolled: 1-line block ×4, first 2 shown]
	v_pk_mul_f32 v[130:131], v[128:129], s[10:11] op_sel_hi:[1,0]
	v_pk_add_f32 v[134:135], v[104:105], v[108:109] neg_lo:[0,1] neg_hi:[0,1]
	v_pk_add_f32 v[62:63], v[62:63], v[110:111] neg_lo:[0,1] neg_hi:[0,1]
	v_pk_add_f32 v[116:117], v[116:117], v[124:125] op_sel:[0,1] op_sel_hi:[1,0]
	v_pk_add_f32 v[132:133], v[56:57], v[130:131] op_sel:[0,1] op_sel_hi:[1,0]
	v_pk_mul_f32 v[136:137], v[134:135], s[8:9] op_sel_hi:[1,0]
	v_pk_add_f32 v[60:61], v[60:61], v[104:105] neg_lo:[0,1] neg_hi:[0,1]
	v_pk_add_f32 v[100:101], v[100:101], v[108:109] neg_lo:[0,1] neg_hi:[0,1]
	v_mov_b32_e32 v110, v63
	v_mov_b32_e32 v124, v120
	;; [unrolled: 1-line block ×3, first 2 shown]
	v_pk_add_f32 v[132:133], v[136:137], v[132:133] op_sel:[1,0] op_sel_hi:[0,1]
	v_pk_add_f32 v[60:61], v[60:61], v[100:101]
	v_pk_add_f32 v[62:63], v[62:63], v[110:111]
	v_pk_fma_f32 v[124:125], v[126:127], s[12:13], v[124:125] op_sel_hi:[1,0,1]
	v_pk_fma_f32 v[100:101], v[60:61], s[12:13], v[132:133] op_sel_hi:[1,0,1]
	v_mov_b32_e32 v113, v129
	s_mov_b32 s13, s8
	v_pk_add_f32 v[56:57], v[56:57], v[130:131] op_sel:[0,1] op_sel_hi:[1,0] neg_lo:[0,1] neg_hi:[0,1]
	v_fmamk_f32 v63, v135, 0x3f737871, v65
	v_pk_mul_f32 v[104:105], v[112:113], s[12:13]
	v_pk_add_f32 v[56:57], v[56:57], v[136:137] op_sel:[0,1] op_sel_hi:[1,0] neg_lo:[0,1] neg_hi:[0,1]
	v_sub_f32_e32 v63, v63, v105
	v_fmac_f32_e32 v65, 0xbf737871, v135
	v_mov_b32_e32 v132, v56
	v_pk_add_f32 v[44:45], v[54:55], v[58:59]
	v_add_f32_e32 v108, v104, v63
	v_add_f32_e32 v63, v105, v65
	v_pk_fma_f32 v[112:113], v[60:61], s[12:13], v[132:133] op_sel_hi:[1,0,1]
	v_pk_add_f32 v[44:45], v[44:45], v[102:103]
	v_add_f32_e32 v104, v104, v63
	v_mov_b32_e32 v63, v128
	v_pk_mul_f32 v[128:129], v[112:113], s[8:9] op_sel_hi:[1,0]
	v_pk_add_f32 v[44:45], v[44:45], v[106:107]
	v_pk_fma_f32 v[130:131], v[112:113], s[14:15], v[128:129] op_sel:[0,0,1] op_sel_hi:[1,0,0] neg_lo:[0,0,1] neg_hi:[0,0,1]
	v_pk_fma_f32 v[112:113], v[112:113], s[14:15], v[128:129] op_sel:[0,0,1] op_sel_hi:[1,0,0]
	v_pk_add_f32 v[44:45], v[44:45], v[98:99]
	v_mov_b32_e32 v131, v113
	v_pk_add_f32 v[110:111], v[44:45], v[114:115]
	v_pk_add_f32 v[112:113], v[124:125], v[130:131]
	s_barrier
	ds_write_b128 v73, v[110:113]
	v_pk_add_f32 v[110:111], v[58:59], v[98:99]
	v_pk_add_f32 v[58:59], v[102:103], v[58:59] neg_lo:[0,1] neg_hi:[0,1]
	v_pk_add_f32 v[98:99], v[106:107], v[98:99] neg_lo:[0,1] neg_hi:[0,1]
	v_pk_fma_f32 v[54:55], v[110:111], 0.5, v[54:55] op_sel_hi:[1,0,1] neg_lo:[1,0,0] neg_hi:[1,0,0]
	v_pk_add_f32 v[58:59], v[58:59], v[98:99]
	v_pk_mul_f32 v[98:99], v[122:123], s[10:11] op_sel_hi:[1,0]
	v_pk_fma_f32 v[60:61], v[60:61], s[12:13], v[56:57] op_sel_hi:[1,0,1]
	v_fmamk_f32 v65, v134, 0xbf737871, v138
	v_pk_mul_f32 v[56:57], v[62:63], s[12:13]
	v_pk_mul_f32 v[102:103], v[118:119], s[8:9] op_sel_hi:[1,0]
	v_pk_add_f32 v[106:107], v[54:55], v[98:99] op_sel:[0,1] op_sel_hi:[1,0]
	v_pk_add_f32 v[54:55], v[54:55], v[98:99] op_sel:[0,1] op_sel_hi:[1,0] neg_lo:[0,1] neg_hi:[0,1]
	v_add_f32_e32 v62, v57, v65
	v_fmac_f32_e32 v138, 0x3f737871, v134
	v_pk_add_f32 v[98:99], v[54:55], v[102:103] op_sel:[0,1] op_sel_hi:[1,0]
	v_pk_add_f32 v[102:103], v[106:107], v[102:103] op_sel:[0,1] op_sel_hi:[1,0] neg_lo:[0,1] neg_hi:[0,1]
	v_add_f32_e32 v62, v56, v62
	v_sub_f32_e32 v57, v138, v57
	v_mov_b32_e32 v54, v102
	v_mov_b32_e32 v55, v99
	s_mov_b32 s11, s12
	v_add_f32_e32 v56, v56, v57
	v_pk_fma_f32 v[106:107], v[58:59], s[12:13], v[54:55] op_sel_hi:[1,0,1]
	v_pk_mul_f32 v[54:55], v[62:63], s[10:11] op_sel_hi:[0,1]
	v_pk_fma_f32 v[62:63], v[108:109], s[16:17], v[54:55] neg_lo:[0,0,1] neg_hi:[0,0,1]
	v_pk_fma_f32 v[54:55], v[108:109], s[16:17], v[54:55] op_sel_hi:[0,1,1]
	v_pk_mul_f32 v[56:57], v[56:57], s[10:11] op_sel_hi:[0,1]
	v_mov_b32_e32 v99, v103
	v_mov_b32_e32 v63, v55
	v_pk_fma_f32 v[104:105], v[104:105], s[20:21], v[56:57] op_sel_hi:[0,1,1] neg_lo:[0,0,1] neg_hi:[0,0,1]
	v_pk_fma_f32 v[58:59], v[58:59], s[12:13], v[98:99] op_sel_hi:[1,0,1]
	v_pk_add_f32 v[54:55], v[106:107], v[62:63]
	v_pk_add_f32 v[56:57], v[58:59], v[104:105]
	s_mov_b32 s9, s14
	ds_write_b128 v73, v[54:57] offset:16
	v_mov_b32_e32 v117, v121
	v_pk_mul_f32 v[54:55], v[60:61], s[8:9] op_sel:[1,0]
	v_pk_fma_f32 v[98:99], v[126:127], s[12:13], v[116:117] op_sel_hi:[1,0,1]
	v_pk_fma_f32 v[60:61], v[100:101], s[18:19], v[54:55] op_sel_hi:[0,1,1] neg_lo:[0,0,1] neg_hi:[0,0,1]
	v_pk_add_f32 v[54:55], v[98:99], v[60:61]
	v_pk_add_f32 v[56:57], v[44:45], v[114:115] neg_lo:[0,1] neg_hi:[0,1]
	ds_write_b128 v73, v[54:57] offset:32
	v_pk_add_f32 v[54:55], v[124:125], v[130:131] neg_lo:[0,1] neg_hi:[0,1]
	v_pk_add_f32 v[56:57], v[106:107], v[62:63] neg_lo:[0,1] neg_hi:[0,1]
	ds_write_b128 v73, v[54:57] offset:48
	v_pk_add_f32 v[54:55], v[58:59], v[104:105] neg_lo:[0,1] neg_hi:[0,1]
	v_pk_add_f32 v[56:57], v[98:99], v[60:61] neg_lo:[0,1] neg_hi:[0,1]
	ds_write_b128 v73, v[54:57] offset:64
	s_waitcnt lgkmcnt(0)
	s_barrier
	ds_read2_b64 v[54:57], v64 offset1:130
	ds_read2_b64 v[58:61], v53 offset0:16 offset1:146
	ds_read2_b64 v[98:101], v52 offset0:4 offset1:134
	v_mov_b32_e32 v62, v1
	s_mov_b32 s15, s8
	s_waitcnt lgkmcnt(2)
	v_pk_mul_f32 v[44:45], v[0:1], v[56:57]
	v_pk_mul_f32 v[62:63], v[62:63], v[56:57] op_sel:[0,1] op_sel_hi:[1,0]
	v_pk_mul_f32 v[0:1], v[0:1], v[56:57] op_sel:[0,1] op_sel_hi:[1,0]
	v_mov_b32_e32 v56, v5
	s_waitcnt lgkmcnt(0)
	v_pk_mul_f32 v[56:57], v[56:57], v[100:101] op_sel:[0,1] op_sel_hi:[1,0]
	v_mov_b32_e32 v104, v0
	v_pk_fma_f32 v[56:57], v[4:5], v[100:101], v[56:57]
	v_pk_mul_f32 v[4:5], v[4:5], v[100:101] op_sel:[0,1] op_sel_hi:[1,0]
	ds_read2_b64 v[100:103], v51 offset0:8 offset1:138
	v_mov_b32_e32 v105, v4
	v_mov_b32_e32 v4, v1
	v_pk_add_f32 v[0:1], v[104:105], v[4:5] neg_lo:[0,1] neg_hi:[0,1]
	ds_read2_b64 v[104:107], v50 offset0:12 offset1:142
	v_mov_b32_e32 v5, v8
	s_waitcnt lgkmcnt(1)
	v_pk_mul_f32 v[4:5], v[4:5], v[102:103] op_sel:[0,1] op_sel_hi:[1,0]
	v_pk_mul_f32 v[108:109], v[8:9], v[102:103]
	v_mov_b32_e32 v4, v13
	v_pk_mul_f32 v[8:9], v[8:9], v[102:103] op_sel:[0,1] op_sel_hi:[1,0]
	s_waitcnt lgkmcnt(0)
	v_pk_mul_f32 v[102:103], v[4:5], v[106:107] op_sel:[0,1] op_sel_hi:[1,0]
	v_pk_mul_f32 v[96:97], v[96:97], v[58:59]
	v_pk_fma_f32 v[102:103], v[12:13], v[106:107], v[102:103]
	v_pk_mul_f32 v[12:13], v[12:13], v[106:107] op_sel:[0,1] op_sel_hi:[1,0]
	v_mov_b32_e32 v106, v8
	v_mov_b32_e32 v107, v12
	;; [unrolled: 1-line block ×3, first 2 shown]
	v_pk_add_f32 v[8:9], v[106:107], v[12:13] neg_lo:[0,1] neg_hi:[0,1]
	v_pk_fma_f32 v[110:111], v[14:15], v[58:59], v[96:97] op_sel:[0,0,1] op_sel_hi:[1,1,0]
	v_mov_b32_e32 v4, v9
	v_pk_add_f32 v[12:13], v[8:9], v[4:5] neg_lo:[0,1] neg_hi:[0,1]
	v_add_f32_e32 v4, v8, v9
	v_fma_f32 v53, -0.5, v4, v0
	v_mov_b32_e32 v4, v1
	v_pk_fma_f32 v[14:15], v[14:15], v[58:59], v[96:97] op_sel:[0,0,1] op_sel_hi:[1,1,0] neg_lo:[0,0,1] neg_hi:[0,0,1]
	v_pk_add_f32 v[96:97], v[4:5], v[8:9] neg_lo:[0,1] neg_hi:[0,1]
	v_pk_add_f32 v[4:5], v[4:5], v[108:109]
	v_mov_b32_e32 v111, v15
	v_pk_mul_f32 v[14:15], v[94:95], v[60:61]
	v_mov_b32_e32 v45, v5
	v_mov_b32_e32 v63, v102
	;; [unrolled: 1-line block ×3, first 2 shown]
	v_pk_fma_f32 v[58:59], v[46:47], v[60:61], v[14:15] op_sel:[0,0,1] op_sel_hi:[1,1,0]
	v_pk_fma_f32 v[14:15], v[46:47], v[60:61], v[14:15] op_sel:[0,0,1] op_sel_hi:[1,1,0] neg_lo:[0,0,1] neg_hi:[0,0,1]
	v_pk_add_f32 v[44:45], v[44:45], v[62:63]
	v_pk_add_f32 v[106:107], v[12:13], v[0:1]
	v_mov_b32_e32 v59, v15
	v_pk_add_f32 v[62:63], v[44:45], v[56:57]
	v_pk_add_f32 v[60:61], v[56:57], v[58:59] neg_lo:[0,1] neg_hi:[0,1]
	v_pk_add_f32 v[94:95], v[14:15], v[8:9] neg_lo:[0,1] neg_hi:[0,1]
	v_mov_b32_e32 v63, v107
	v_mov_b32_e32 v57, v58
	;; [unrolled: 1-line block ×4, first 2 shown]
	v_pk_add_f32 v[108:109], v[56:57], v[106:107] neg_lo:[0,1] neg_hi:[0,1]
	v_mov_b32_e32 v94, v95
	v_mov_b32_e32 v95, v102
	v_pk_add_f32 v[96:97], v[96:97], v[94:95]
	v_pk_add_f32 v[94:95], v[4:5], v[94:95] neg_lo:[0,1] neg_hi:[0,1]
	v_mov_b32_e32 v4, v109
	v_pk_add_f32 v[46:47], v[0:1], v[58:59] neg_lo:[0,1] neg_hi:[0,1]
	v_add_f32_e32 v13, v56, v58
	v_pk_add_f32 v[56:57], v[106:107], v[56:57] neg_lo:[0,1] neg_hi:[0,1]
	v_pk_add_f32 v[106:107], v[108:109], v[4:5]
	v_fma_f32 v46, -0.5, v13, v44
	v_fmac_f32_e32 v44, -0.5, v45
	v_mov_b32_e32 v107, v12
	v_fmamk_f32 v65, v12, 0x3f737871, v46
	v_fmac_f32_e32 v46, 0xbf737871, v12
	v_fmamk_f32 v14, v47, 0xbf737871, v44
	v_pk_mul_f32 v[12:13], v[106:107], s[12:13]
	v_fmac_f32_e32 v44, 0x3f737871, v47
	v_sub_f32_e32 v4, v14, v13
	v_mov_b32_e32 v14, v57
	v_add_f32_e32 v13, v13, v44
	v_pk_add_f32 v[44:45], v[56:57], v[14:15]
	v_mov_b32_e32 v56, v5
	v_mov_b32_e32 v57, v8
	;; [unrolled: 1-line block ×3, first 2 shown]
	v_pk_add_f32 v[56:57], v[62:63], v[56:57]
	v_mov_b32_e32 v97, v95
	v_pk_add_f32 v[56:57], v[56:57], v[102:103]
	v_fmamk_f32 v61, v60, 0x3f737871, v53
	v_mov_b32_e32 v45, v47
	v_pk_add_f32 v[56:57], v[56:57], v[58:59]
	v_pk_mul_f32 v[58:59], v[96:97], s[12:13]
	v_pk_mul_f32 v[44:45], v[44:45], s[12:13]
	v_add_f32_e32 v5, v59, v61
	v_fmac_f32_e32 v53, 0xbf737871, v60
	v_add_f32_e32 v4, v12, v4
	v_add_f32_e32 v12, v12, v13
	v_sub_f32_e32 v13, v65, v45
	v_add_f32_e32 v14, v45, v46
	v_add_f32_e32 v62, v58, v5
	v_sub_f32_e32 v5, v53, v59
	v_add_f32_e32 v46, v44, v13
	v_add_f32_e32 v44, v44, v14
	;; [unrolled: 1-line block ×4, first 2 shown]
	v_mov_b32_e32 v14, v1
	v_fma_f32 v5, -0.5, v5, v0
	v_pk_add_f32 v[0:1], v[8:9], v[14:15] neg_lo:[0,1] neg_hi:[0,1]
	v_fmamk_f32 v13, v95, 0xbf737871, v5
	v_mov_b32_e32 v8, v1
	v_pk_add_f32 v[0:1], v[0:1], v[8:9]
	v_fmac_f32_e32 v5, 0x3f737871, v95
	v_mov_b32_e32 v1, v60
	v_pk_mul_f32 v[0:1], v[0:1], s[12:13]
	v_pk_mul_f32 v[62:63], v[62:63], s[8:9] op_sel_hi:[0,1]
	v_add_f32_e32 v8, v1, v13
	v_sub_f32_e32 v1, v5, v1
	v_add_f32_e32 v8, v0, v8
	v_add_f32_e32 v14, v0, v1
	v_pk_mul_f32 v[0:1], v[88:89], v[98:99]
	v_pk_mul_f32 v[8:9], v[8:9], s[10:11] op_sel_hi:[0,1]
	v_pk_fma_f32 v[60:61], v[2:3], v[98:99], v[0:1] op_sel:[0,0,1] op_sel_hi:[1,1,0]
	v_pk_fma_f32 v[0:1], v[2:3], v[98:99], v[0:1] op_sel:[0,0,1] op_sel_hi:[1,1,0] neg_lo:[0,0,1] neg_hi:[0,0,1]
	s_nop 0
	v_mov_b32_e32 v61, v1
	v_pk_mul_f32 v[0:1], v[90:91], v[100:101]
	s_barrier
	v_pk_fma_f32 v[88:89], v[6:7], v[100:101], v[0:1] op_sel:[0,0,1] op_sel_hi:[1,1,0]
	v_pk_fma_f32 v[0:1], v[6:7], v[100:101], v[0:1] op_sel:[0,0,1] op_sel_hi:[1,1,0] neg_lo:[0,0,1] neg_hi:[0,0,1]
	v_pk_fma_f32 v[100:101], v[4:5], s[14:15], v[62:63] neg_lo:[0,0,1] neg_hi:[0,0,1]
	v_mov_b32_e32 v89, v1
	v_pk_mul_f32 v[0:1], v[92:93], v[104:105]
	v_pk_add_f32 v[92:93], v[60:61], v[110:111] neg_lo:[0,1] neg_hi:[0,1]
	v_pk_fma_f32 v[6:7], v[10:11], v[104:105], v[0:1] op_sel:[0,0,1] op_sel_hi:[1,1,0]
	v_pk_fma_f32 v[0:1], v[10:11], v[104:105], v[0:1] op_sel:[0,0,1] op_sel_hi:[1,1,0] neg_lo:[0,0,1] neg_hi:[0,0,1]
	v_pk_fma_f32 v[4:5], v[4:5], s[14:15], v[62:63] op_sel_hi:[0,1,1]
	v_mov_b32_e32 v7, v1
	v_pk_add_f32 v[0:1], v[54:55], v[60:61]
	v_pk_add_f32 v[2:3], v[88:89], v[6:7]
	;; [unrolled: 1-line block ×3, first 2 shown]
	v_pk_fma_f32 v[2:3], v[2:3], 0.5, v[54:55] op_sel_hi:[1,0,1] neg_lo:[1,0,0] neg_hi:[1,0,0]
	v_pk_add_f32 v[90:91], v[60:61], v[88:89] neg_lo:[0,1] neg_hi:[0,1]
	v_pk_mul_f32 v[94:95], v[92:93], s[10:11] op_sel_hi:[1,0]
	v_pk_add_f32 v[96:97], v[110:111], v[6:7] neg_lo:[0,1] neg_hi:[0,1]
	v_pk_add_f32 v[0:1], v[0:1], v[6:7]
	v_mov_b32_e32 v101, v5
	v_pk_mul_f32 v[4:5], v[14:15], s[10:11] op_sel_hi:[0,1]
	v_pk_add_f32 v[14:15], v[60:61], v[110:111]
	v_pk_add_f32 v[10:11], v[88:89], v[6:7] neg_lo:[0,1] neg_hi:[0,1]
	v_pk_add_f32 v[90:91], v[90:91], v[96:97]
	v_pk_add_f32 v[96:97], v[0:1], v[110:111]
	v_pk_add_f32 v[0:1], v[2:3], v[94:95] op_sel:[0,1] op_sel_hi:[1,0]
	v_pk_add_f32 v[2:3], v[2:3], v[94:95] op_sel:[0,1] op_sel_hi:[1,0] neg_lo:[0,1] neg_hi:[0,1]
	v_pk_fma_f32 v[44:45], v[44:45], s[20:21], v[4:5] op_sel_hi:[0,1,1] neg_lo:[0,0,1] neg_hi:[0,0,1]
	v_pk_add_f32 v[4:5], v[88:89], v[60:61] neg_lo:[0,1] neg_hi:[0,1]
	v_pk_fma_f32 v[14:15], v[14:15], 0.5, v[54:55] op_sel_hi:[1,0,1] neg_lo:[1,0,0] neg_hi:[1,0,0]
	v_pk_add_f32 v[6:7], v[6:7], v[110:111] neg_lo:[0,1] neg_hi:[0,1]
	v_pk_fma_f32 v[2:3], v[10:11], s[8:9], v[2:3] op_sel:[1,0,0] op_sel_hi:[0,0,1] neg_lo:[1,0,0] neg_hi:[1,0,0]
	v_pk_fma_f32 v[94:95], v[10:11], s[8:9], v[0:1] op_sel:[1,0,0] op_sel_hi:[0,0,1]
	v_pk_mul_f32 v[54:55], v[92:93], s[8:9] op_sel_hi:[1,0]
	v_pk_add_f32 v[4:5], v[4:5], v[6:7]
	v_pk_fma_f32 v[6:7], v[10:11], s[10:11], v[14:15] op_sel:[1,0,0] op_sel_hi:[0,0,1] neg_lo:[1,0,0] neg_hi:[1,0,0]
	v_pk_fma_f32 v[10:11], v[10:11], s[10:11], v[14:15] op_sel:[1,0,0] op_sel_hi:[0,0,1]
	v_pk_add_f32 v[10:11], v[10:11], v[54:55] op_sel:[0,1] op_sel_hi:[1,0] neg_lo:[0,1] neg_hi:[0,1]
	v_pk_add_f32 v[6:7], v[6:7], v[54:55] op_sel:[0,1] op_sel_hi:[1,0]
	v_pk_fma_f32 v[60:61], v[46:47], s[16:17], v[8:9] neg_lo:[0,0,1] neg_hi:[0,0,1]
	v_pk_fma_f32 v[8:9], v[46:47], s[16:17], v[8:9] op_sel_hi:[0,1,1]
	v_mov_b32_e32 v0, v94
	v_mov_b32_e32 v1, v3
	;; [unrolled: 1-line block ×7, first 2 shown]
	v_pk_mul_f32 v[8:9], v[58:59], s[8:9] op_sel_hi:[0,1]
	v_pk_fma_f32 v[98:99], v[90:91], s[12:13], v[0:1] op_sel_hi:[1,0,1]
	v_pk_fma_f32 v[62:63], v[90:91], s[12:13], v[2:3] op_sel_hi:[1,0,1]
	;; [unrolled: 1-line block ×4, first 2 shown]
	v_pk_fma_f32 v[46:47], v[12:13], s[18:19], v[8:9] op_sel_hi:[0,1,1] neg_lo:[0,0,1] neg_hi:[0,0,1]
	v_pk_add_f32 v[0:1], v[96:97], v[56:57]
	v_pk_add_f32 v[2:3], v[62:63], v[100:101]
	;; [unrolled: 1-line block ×5, first 2 shown]
	v_pk_add_f32 v[14:15], v[96:97], v[56:57] neg_lo:[0,1] neg_hi:[0,1]
	v_pk_add_f32 v[8:9], v[62:63], v[100:101] neg_lo:[0,1] neg_hi:[0,1]
	;; [unrolled: 1-line block ×5, first 2 shown]
	ds_write2_b64 v205, v[0:1], v[2:3] offset1:10
	ds_write2_b64 v205, v[4:5], v[6:7] offset0:20 offset1:30
	ds_write2_b64 v205, v[12:13], v[14:15] offset0:40 offset1:50
	;; [unrolled: 1-line block ×4, first 2 shown]
	s_waitcnt lgkmcnt(0)
	s_barrier
	s_and_saveexec_b64 s[8:9], s[0:1]
	s_cbranch_execz .LBB0_7
; %bb.6:
	v_add_u32_e32 v4, 0x400, v64
	ds_read2_b64 v[0:3], v64 offset1:100
	ds_read2_b64 v[4:7], v4 offset0:72 offset1:172
	ds_read2_b64 v[12:15], v52 offset0:144 offset1:244
	;; [unrolled: 1-line block ×4, first 2 shown]
	v_add_u32_e32 v40, 0x1c00, v64
	ds_read2_b64 v[40:43], v40 offset0:104 offset1:204
	ds_read_b64 v[48:49], v64 offset:9600
.LBB0_7:
	s_or_b64 exec, exec, s[8:9]
	s_and_saveexec_b64 s[8:9], s[0:1]
	s_cbranch_execz .LBB0_9
; %bb.8:
	s_waitcnt lgkmcnt(0)
	v_pk_mul_f32 v[50:51], v[38:39], v[48:49] op_sel:[0,1]
	v_pk_mul_f32 v[54:55], v[36:37], v[42:43] op_sel:[0,1]
	v_pk_mul_f32 v[88:89], v[18:19], v[12:13] op_sel_hi:[1,0]
	v_pk_fma_f32 v[98:99], v[38:39], v[48:49], v[50:51] op_sel:[0,0,1] op_sel_hi:[1,1,0]
	v_pk_fma_f32 v[38:39], v[38:39], v[48:49], v[50:51] op_sel:[0,0,1] op_sel_hi:[1,0,0] neg_lo:[1,0,0] neg_hi:[1,0,0]
	v_pk_mul_f32 v[58:59], v[34:35], v[40:41] op_sel:[0,1]
	v_pk_mul_f32 v[62:63], v[32:33], v[46:47] op_sel:[0,1]
	v_mov_b32_e32 v99, v39
	v_pk_fma_f32 v[38:39], v[36:37], v[42:43], v[54:55] op_sel:[0,0,1] op_sel_hi:[1,1,0]
	v_pk_fma_f32 v[36:37], v[36:37], v[42:43], v[54:55] op_sel:[0,0,1] op_sel_hi:[1,0,0] neg_lo:[1,0,0] neg_hi:[1,0,0]
	v_pk_fma_f32 v[54:55], v[18:19], v[12:13], v[88:89] op_sel:[1,1,0] op_sel_hi:[0,1,1]
	v_pk_fma_f32 v[12:13], v[18:19], v[12:13], v[88:89] op_sel:[1,1,0] op_sel_hi:[0,1,1] neg_lo:[0,0,1] neg_hi:[0,0,1]
	v_pk_mul_f32 v[92:93], v[28:29], v[14:15] op_sel:[0,1]
	v_mov_b32_e32 v39, v37
	v_pk_fma_f32 v[36:37], v[34:35], v[40:41], v[58:59] op_sel:[0,0,1] op_sel_hi:[1,1,0]
	v_pk_fma_f32 v[34:35], v[34:35], v[40:41], v[58:59] op_sel:[0,0,1] op_sel_hi:[1,0,0] neg_lo:[1,0,0] neg_hi:[1,0,0]
	v_mov_b32_e32 v55, v13
	v_pk_fma_f32 v[58:59], v[32:33], v[46:47], v[62:63] op_sel:[0,0,1] op_sel_hi:[1,1,0]
	v_pk_fma_f32 v[12:13], v[32:33], v[46:47], v[62:63] op_sel:[0,0,1] op_sel_hi:[1,0,0] neg_lo:[1,0,0] neg_hi:[1,0,0]
	v_pk_mul_f32 v[90:91], v[26:27], v[44:45] op_sel:[0,1]
	v_pk_mul_f32 v[96:97], v[30:31], v[8:9] op_sel:[0,1]
	v_mov_b32_e32 v59, v13
	v_pk_fma_f32 v[32:33], v[28:29], v[14:15], v[92:93] op_sel:[0,0,1] op_sel_hi:[1,1,0]
	v_pk_fma_f32 v[12:13], v[28:29], v[14:15], v[92:93] op_sel:[0,0,1] op_sel_hi:[1,0,0] neg_lo:[1,0,0] neg_hi:[1,0,0]
	v_pk_mul_f32 v[94:95], v[24:25], v[10:11] op_sel:[0,1]
	v_mov_b32_e32 v33, v13
	v_pk_fma_f32 v[28:29], v[26:27], v[44:45], v[90:91] op_sel:[0,0,1] op_sel_hi:[1,1,0]
	v_pk_fma_f32 v[12:13], v[26:27], v[44:45], v[90:91] op_sel:[0,0,1] op_sel_hi:[1,0,0] neg_lo:[1,0,0] neg_hi:[1,0,0]
	v_pk_fma_f32 v[26:27], v[30:31], v[8:9], v[96:97] op_sel:[0,0,1] op_sel_hi:[1,1,0]
	v_pk_fma_f32 v[8:9], v[30:31], v[8:9], v[96:97] op_sel:[0,0,1] op_sel_hi:[1,0,0] neg_lo:[1,0,0] neg_hi:[1,0,0]
	v_pk_mul_f32 v[52:53], v[20:21], v[2:3] op_sel_hi:[1,0]
	v_mov_b32_e32 v27, v9
	v_pk_fma_f32 v[30:31], v[24:25], v[10:11], v[94:95] op_sel:[0,0,1] op_sel_hi:[1,1,0]
	v_pk_fma_f32 v[8:9], v[24:25], v[10:11], v[94:95] op_sel:[0,0,1] op_sel_hi:[1,0,0] neg_lo:[1,0,0] neg_hi:[1,0,0]
	v_pk_mul_f32 v[56:57], v[22:23], v[4:5] op_sel:[0,1]
	v_mov_b32_e32 v31, v9
	v_pk_fma_f32 v[8:9], v[20:21], v[2:3], v[52:53] op_sel:[1,1,0] op_sel_hi:[0,1,1]
	v_pk_fma_f32 v[2:3], v[20:21], v[2:3], v[52:53] op_sel:[1,1,0] op_sel_hi:[0,1,1] neg_lo:[0,0,1] neg_hi:[0,0,1]
	v_pk_mul_f32 v[60:61], v[16:17], v[6:7] op_sel:[0,1]
	v_mov_b32_e32 v9, v3
	v_pk_fma_f32 v[44:45], v[22:23], v[4:5], v[56:57] op_sel:[0,0,1] op_sel_hi:[1,1,0]
	v_pk_fma_f32 v[2:3], v[22:23], v[4:5], v[56:57] op_sel:[0,0,1] op_sel_hi:[1,0,0] neg_lo:[1,0,0] neg_hi:[1,0,0]
	v_pk_fma_f32 v[46:47], v[16:17], v[6:7], v[60:61] op_sel:[0,0,1] op_sel_hi:[1,1,0]
	v_mov_b32_e32 v45, v3
	v_pk_fma_f32 v[2:3], v[16:17], v[6:7], v[60:61] op_sel:[0,0,1] op_sel_hi:[1,0,0] neg_lo:[1,0,0] neg_hi:[1,0,0]
	v_pk_add_f32 v[60:61], v[8:9], v[98:99] neg_lo:[0,1] neg_hi:[0,1]
	s_mov_b32 s0, 0xbeedf032
	v_pk_add_f32 v[56:57], v[98:99], v[8:9]
	s_mov_b32 s12, 0x3f62ad3f
	v_pk_mul_f32 v[4:5], v[60:61], s[0:1] op_sel_hi:[1,0]
	v_mov_b32_e32 v47, v3
	v_pk_add_f32 v[88:89], v[44:45], v[38:39] neg_lo:[0,1] neg_hi:[0,1]
	v_pk_fma_f32 v[2:3], v[56:57], s[12:13], v[4:5] op_sel:[0,0,1] op_sel_hi:[1,0,0]
	v_pk_fma_f32 v[4:5], v[56:57], s[12:13], v[4:5] op_sel:[0,0,1] op_sel_hi:[1,0,0] neg_lo:[0,0,1] neg_hi:[0,0,1]
	s_mov_b32 s22, 0xbf52af12
	v_pk_add_f32 v[52:53], v[8:9], v[0:1]
	v_pk_add_f32 v[62:63], v[38:39], v[44:45]
	v_mov_b32_e32 v6, v2
	v_mov_b32_e32 v7, v5
	s_mov_b32 s10, 0x3f116cb1
	v_pk_mul_f32 v[8:9], v[88:89], s[22:23] op_sel_hi:[1,0]
	v_mov_b32_e32 v37, v35
	v_pk_add_f32 v[10:11], v[0:1], v[6:7]
	v_pk_fma_f32 v[6:7], v[62:63], s[10:11], v[8:9] op_sel:[0,0,1] op_sel_hi:[1,0,0]
	v_pk_fma_f32 v[8:9], v[62:63], s[10:11], v[8:9] op_sel:[0,0,1] op_sel_hi:[1,0,0] neg_lo:[0,0,1] neg_hi:[0,0,1]
	v_mov_b32_e32 v29, v13
	v_pk_add_f32 v[92:93], v[46:47], v[36:37] neg_lo:[0,1] neg_hi:[0,1]
	v_mov_b32_e32 v12, v6
	v_mov_b32_e32 v13, v9
	s_mov_b32 s30, 0xbf7e222b
	v_pk_add_f32 v[90:91], v[36:37], v[46:47]
	v_pk_add_f32 v[14:15], v[12:13], v[10:11]
	s_mov_b32 s0, 0x3df6dbef
	v_pk_mul_f32 v[12:13], v[92:93], s[30:31] op_sel_hi:[1,0]
	v_pk_add_f32 v[94:95], v[54:55], v[58:59] neg_lo:[0,1] neg_hi:[0,1]
	v_pk_fma_f32 v[10:11], v[90:91], s[0:1], v[12:13] op_sel:[0,0,1] op_sel_hi:[1,0,0]
	v_pk_fma_f32 v[12:13], v[90:91], s[0:1], v[12:13] op_sel:[0,0,1] op_sel_hi:[1,0,0] neg_lo:[0,0,1] neg_hi:[0,0,1]
	v_mov_b32_e32 v16, v10
	v_mov_b32_e32 v17, v13
	s_mov_b32 s16, 0xbf6f5d39
	v_pk_add_f32 v[44:45], v[44:45], v[52:53]
	v_pk_add_f32 v[50:51], v[58:59], v[54:55]
	;; [unrolled: 1-line block ×3, first 2 shown]
	s_mov_b32 s14, 0xbeb58ec6
	v_pk_mul_f32 v[16:17], v[94:95], s[16:17] op_sel_hi:[1,0]
	v_pk_add_f32 v[44:45], v[46:47], v[44:45]
	v_pk_fma_f32 v[14:15], v[50:51], s[14:15], v[16:17] op_sel:[0,0,1] op_sel_hi:[1,0,0]
	v_pk_fma_f32 v[16:17], v[50:51], s[14:15], v[16:17] op_sel:[0,0,1] op_sel_hi:[1,0,0] neg_lo:[0,0,1] neg_hi:[0,0,1]
	v_pk_add_f32 v[44:45], v[54:55], v[44:45]
	v_pk_add_f32 v[42:43], v[28:29], v[32:33]
	v_pk_add_f32 v[48:49], v[32:33], v[28:29] neg_lo:[0,1] neg_hi:[0,1]
	v_mov_b32_e32 v20, v14
	v_mov_b32_e32 v21, v17
	s_mov_b32 s20, 0xbf29c268
	v_pk_add_f32 v[32:33], v[32:33], v[44:45]
	v_pk_add_f32 v[34:35], v[30:31], v[26:27]
	v_pk_add_f32 v[40:41], v[26:27], v[30:31] neg_lo:[0,1] neg_hi:[0,1]
	v_pk_add_f32 v[22:23], v[20:21], v[18:19]
	s_mov_b32 s18, 0xbf3f9e67
	v_pk_mul_f32 v[20:21], v[48:49], s[20:21] op_sel_hi:[1,0]
	v_pk_add_f32 v[26:27], v[26:27], v[32:33]
	v_pk_fma_f32 v[18:19], v[42:43], s[18:19], v[20:21] op_sel:[0,0,1] op_sel_hi:[1,0,0]
	v_pk_fma_f32 v[20:21], v[42:43], s[18:19], v[20:21] op_sel:[0,0,1] op_sel_hi:[1,0,0] neg_lo:[0,0,1] neg_hi:[0,0,1]
	v_pk_add_f32 v[26:27], v[30:31], v[26:27]
	v_mov_b32_e32 v24, v18
	v_mov_b32_e32 v25, v21
	s_mov_b32 s26, 0xbe750f2a
	v_pk_add_f32 v[26:27], v[28:29], v[26:27]
	v_pk_add_f32 v[96:97], v[24:25], v[22:23]
	s_mov_b32 s24, 0xbf788fa5
	v_pk_mul_f32 v[24:25], v[40:41], s[26:27] op_sel_hi:[1,0]
	v_pk_add_f32 v[26:27], v[58:59], v[26:27]
	v_pk_fma_f32 v[22:23], v[34:35], s[24:25], v[24:25] op_sel:[0,0,1] op_sel_hi:[1,0,0]
	v_pk_fma_f32 v[24:25], v[34:35], s[24:25], v[24:25] op_sel:[0,0,1] op_sel_hi:[1,0,0] neg_lo:[0,0,1] neg_hi:[0,0,1]
	v_pk_add_f32 v[26:27], v[36:37], v[26:27]
	v_mov_b32_e32 v100, v22
	v_mov_b32_e32 v101, v25
	v_pk_add_f32 v[26:27], v[38:39], v[26:27]
	v_pk_add_f32 v[96:97], v[100:101], v[96:97]
	;; [unrolled: 1-line block ×3, first 2 shown]
	v_pk_mul_f32 v[28:29], v[60:61], s[22:23] op_sel_hi:[1,0]
	ds_write2_b64 v64, v[26:27], v[96:97] offset1:100
	v_pk_fma_f32 v[26:27], v[56:57], s[10:11], v[28:29] op_sel:[0,0,1] op_sel_hi:[1,0,0]
	v_pk_fma_f32 v[28:29], v[56:57], s[10:11], v[28:29] op_sel:[0,0,1] op_sel_hi:[1,0,0] neg_lo:[0,0,1] neg_hi:[0,0,1]
	v_mov_b32_e32 v30, v26
	v_mov_b32_e32 v31, v29
	v_pk_mul_f32 v[32:33], v[88:89], s[16:17] op_sel_hi:[1,0]
	v_pk_add_f32 v[36:37], v[0:1], v[30:31]
	v_pk_fma_f32 v[30:31], v[62:63], s[14:15], v[32:33] op_sel:[0,0,1] op_sel_hi:[1,0,0]
	v_pk_fma_f32 v[32:33], v[62:63], s[14:15], v[32:33] op_sel:[0,0,1] op_sel_hi:[1,0,0] neg_lo:[0,0,1] neg_hi:[0,0,1]
	v_mov_b32_e32 v38, v30
	v_mov_b32_e32 v39, v33
	v_pk_add_f32 v[44:45], v[38:39], v[36:37]
	v_pk_mul_f32 v[38:39], v[92:93], s[26:27] op_sel_hi:[1,0]
	s_mov_b32 s36, 0x3f29c268
	v_pk_fma_f32 v[36:37], v[90:91], s[24:25], v[38:39] op_sel:[0,0,1] op_sel_hi:[1,0,0]
	v_pk_fma_f32 v[38:39], v[90:91], s[24:25], v[38:39] op_sel:[0,0,1] op_sel_hi:[1,0,0] neg_lo:[0,0,1] neg_hi:[0,0,1]
	v_mov_b32_e32 v46, v36
	v_mov_b32_e32 v47, v39
	v_pk_add_f32 v[52:53], v[46:47], v[44:45]
	v_pk_mul_f32 v[46:47], v[94:95], s[36:37] op_sel_hi:[1,0]
	s_mov_b32 s28, 0x3f7e222b
	;; [unrolled: 7-line block ×3, first 2 shown]
	v_pk_fma_f32 v[58:59], v[42:43], s[0:1], v[54:55] op_sel:[0,0,1] op_sel_hi:[1,0,0]
	v_pk_fma_f32 v[54:55], v[42:43], s[0:1], v[54:55] op_sel:[0,0,1] op_sel_hi:[1,0,0] neg_lo:[0,0,1] neg_hi:[0,0,1]
	v_mov_b32_e32 v96, v58
	v_mov_b32_e32 v97, v55
	v_pk_add_f32 v[52:53], v[96:97], v[52:53]
	v_pk_mul_f32 v[96:97], v[40:41], s[34:35] op_sel_hi:[1,0]
	v_pk_mul_f32 v[106:107], v[88:89], s[26:27] op_sel_hi:[1,0]
	v_pk_fma_f32 v[98:99], v[34:35], s[12:13], v[96:97] op_sel:[0,0,1] op_sel_hi:[1,0,0]
	v_pk_fma_f32 v[96:97], v[34:35], s[12:13], v[96:97] op_sel:[0,0,1] op_sel_hi:[1,0,0] neg_lo:[0,0,1] neg_hi:[0,0,1]
	v_mov_b32_e32 v100, v98
	v_mov_b32_e32 v101, v97
	v_pk_add_f32 v[52:53], v[100:101], v[52:53]
	v_pk_mul_f32 v[100:101], v[60:61], s[30:31] op_sel_hi:[1,0]
	v_pk_fma_f32 v[108:109], v[62:63], s[24:25], v[106:107] op_sel:[0,0,1] op_sel_hi:[1,0,0]
	v_pk_fma_f32 v[102:103], v[56:57], s[0:1], v[100:101] op_sel:[0,0,1] op_sel_hi:[1,0,0]
	v_pk_fma_f32 v[100:101], v[56:57], s[0:1], v[100:101] op_sel:[0,0,1] op_sel_hi:[1,0,0] neg_lo:[0,0,1] neg_hi:[0,0,1]
	v_mov_b32_e32 v104, v102
	v_mov_b32_e32 v105, v101
	v_pk_fma_f32 v[106:107], v[62:63], s[24:25], v[106:107] op_sel:[0,0,1] op_sel_hi:[1,0,0] neg_lo:[0,0,1] neg_hi:[0,0,1]
	v_pk_add_f32 v[104:105], v[0:1], v[104:105]
	v_mov_b32_e32 v110, v108
	v_mov_b32_e32 v111, v107
	s_mov_b32 s38, 0x3f6f5d39
	v_pk_add_f32 v[104:105], v[110:111], v[104:105]
	v_pk_mul_f32 v[110:111], v[92:93], s[38:39] op_sel_hi:[1,0]
	v_add_u32_e32 v2, 0x400, v64
	v_pk_fma_f32 v[112:113], v[90:91], s[14:15], v[110:111] op_sel:[0,0,1] op_sel_hi:[1,0,0]
	v_pk_fma_f32 v[110:111], v[90:91], s[14:15], v[110:111] op_sel:[0,0,1] op_sel_hi:[1,0,0] neg_lo:[0,0,1] neg_hi:[0,0,1]
	v_mov_b32_e32 v114, v112
	v_mov_b32_e32 v115, v111
	v_pk_add_f32 v[104:105], v[114:115], v[104:105]
	v_pk_mul_f32 v[114:115], v[94:95], s[34:35] op_sel_hi:[1,0]
	v_pk_mul_f32 v[128:129], v[88:89], s[36:37] op_sel_hi:[1,0]
	v_pk_fma_f32 v[116:117], v[50:51], s[12:13], v[114:115] op_sel:[0,0,1] op_sel_hi:[1,0,0]
	v_pk_fma_f32 v[114:115], v[50:51], s[12:13], v[114:115] op_sel:[0,0,1] op_sel_hi:[1,0,0] neg_lo:[0,0,1] neg_hi:[0,0,1]
	v_mov_b32_e32 v118, v116
	v_mov_b32_e32 v119, v115
	v_pk_add_f32 v[104:105], v[118:119], v[104:105]
	v_pk_mul_f32 v[118:119], v[48:49], s[22:23] op_sel_hi:[1,0]
	v_pk_fma_f32 v[130:131], v[62:63], s[18:19], v[128:129] op_sel:[0,0,1] op_sel_hi:[1,0,0]
	v_pk_fma_f32 v[120:121], v[42:43], s[10:11], v[118:119] op_sel:[0,0,1] op_sel_hi:[1,0,0]
	v_pk_fma_f32 v[118:119], v[42:43], s[10:11], v[118:119] op_sel:[0,0,1] op_sel_hi:[1,0,0] neg_lo:[0,0,1] neg_hi:[0,0,1]
	v_mov_b32_e32 v122, v120
	v_mov_b32_e32 v123, v119
	v_pk_add_f32 v[104:105], v[122:123], v[104:105]
	v_pk_mul_f32 v[122:123], v[40:41], s[20:21] op_sel_hi:[1,0]
	v_pk_fma_f32 v[128:129], v[62:63], s[18:19], v[128:129] op_sel:[0,0,1] op_sel_hi:[1,0,0] neg_lo:[0,0,1] neg_hi:[0,0,1]
	v_pk_fma_f32 v[124:125], v[34:35], s[18:19], v[122:123] op_sel:[0,0,1] op_sel_hi:[1,0,0]
	v_pk_fma_f32 v[122:123], v[34:35], s[18:19], v[122:123] op_sel:[0,0,1] op_sel_hi:[1,0,0] neg_lo:[0,0,1] neg_hi:[0,0,1]
	v_mov_b32_e32 v126, v124
	v_mov_b32_e32 v127, v123
	v_pk_add_f32 v[104:105], v[126:127], v[104:105]
	ds_write2_b64 v2, v[52:53], v[104:105] offset0:72 offset1:172
	v_pk_mul_f32 v[52:53], v[60:61], s[16:17] op_sel_hi:[1,0]
	v_mov_b32_e32 v132, v130
	v_pk_fma_f32 v[104:105], v[56:57], s[14:15], v[52:53] op_sel:[0,0,1] op_sel_hi:[1,0,0]
	v_pk_fma_f32 v[52:53], v[56:57], s[14:15], v[52:53] op_sel:[0,0,1] op_sel_hi:[1,0,0] neg_lo:[0,0,1] neg_hi:[0,0,1]
	v_mov_b32_e32 v126, v104
	v_mov_b32_e32 v127, v53
	v_pk_add_f32 v[126:127], v[0:1], v[126:127]
	v_mov_b32_e32 v133, v129
	v_pk_add_f32 v[126:127], v[132:133], v[126:127]
	v_pk_mul_f32 v[132:133], v[92:93], s[34:35] op_sel_hi:[1,0]
	s_mov_b32 s36, 0x3f52af12
	v_pk_fma_f32 v[134:135], v[90:91], s[12:13], v[132:133] op_sel:[0,0,1] op_sel_hi:[1,0,0]
	v_pk_fma_f32 v[132:133], v[90:91], s[12:13], v[132:133] op_sel:[0,0,1] op_sel_hi:[1,0,0] neg_lo:[0,0,1] neg_hi:[0,0,1]
	v_mov_b32_e32 v136, v134
	v_mov_b32_e32 v137, v133
	v_pk_add_f32 v[126:127], v[136:137], v[126:127]
	v_pk_mul_f32 v[136:137], v[94:95], s[30:31] op_sel_hi:[1,0]
	s_mov_b32 s30, 0x3e750f2a
	v_pk_fma_f32 v[138:139], v[50:51], s[0:1], v[136:137] op_sel:[0,0,1] op_sel_hi:[1,0,0]
	v_pk_fma_f32 v[136:137], v[50:51], s[0:1], v[136:137] op_sel:[0,0,1] op_sel_hi:[1,0,0] neg_lo:[0,0,1] neg_hi:[0,0,1]
	v_mov_b32_e32 v140, v138
	v_mov_b32_e32 v141, v137
	v_pk_add_f32 v[126:127], v[140:141], v[126:127]
	v_pk_mul_f32 v[140:141], v[48:49], s[30:31] op_sel_hi:[1,0]
	v_pk_mul_f32 v[154:155], v[88:89], s[28:29] op_sel_hi:[1,0]
	v_pk_fma_f32 v[142:143], v[42:43], s[24:25], v[140:141] op_sel:[0,0,1] op_sel_hi:[1,0,0]
	v_pk_fma_f32 v[140:141], v[42:43], s[24:25], v[140:141] op_sel:[0,0,1] op_sel_hi:[1,0,0] neg_lo:[0,0,1] neg_hi:[0,0,1]
	v_mov_b32_e32 v144, v142
	v_mov_b32_e32 v145, v141
	v_pk_add_f32 v[126:127], v[144:145], v[126:127]
	v_pk_mul_f32 v[144:145], v[40:41], s[36:37] op_sel_hi:[1,0]
	v_pk_fma_f32 v[156:157], v[62:63], s[0:1], v[154:155] op_sel:[0,0,1] op_sel_hi:[1,0,0]
	v_pk_fma_f32 v[146:147], v[34:35], s[10:11], v[144:145] op_sel:[0,0,1] op_sel_hi:[1,0,0]
	v_pk_fma_f32 v[144:145], v[34:35], s[10:11], v[144:145] op_sel:[0,0,1] op_sel_hi:[1,0,0] neg_lo:[0,0,1] neg_hi:[0,0,1]
	v_mov_b32_e32 v148, v146
	v_mov_b32_e32 v149, v145
	v_pk_add_f32 v[126:127], v[148:149], v[126:127]
	v_pk_mul_f32 v[148:149], v[60:61], s[20:21] op_sel_hi:[1,0]
	v_pk_fma_f32 v[154:155], v[62:63], s[0:1], v[154:155] op_sel:[0,0,1] op_sel_hi:[1,0,0] neg_lo:[0,0,1] neg_hi:[0,0,1]
	v_pk_fma_f32 v[150:151], v[56:57], s[18:19], v[148:149] op_sel:[0,0,1] op_sel_hi:[1,0,0]
	v_pk_fma_f32 v[148:149], v[56:57], s[18:19], v[148:149] op_sel:[0,0,1] op_sel_hi:[1,0,0] neg_lo:[0,0,1] neg_hi:[0,0,1]
	v_mov_b32_e32 v152, v150
	v_mov_b32_e32 v153, v149
	v_pk_add_f32 v[152:153], v[0:1], v[152:153]
	v_mov_b32_e32 v158, v156
	v_mov_b32_e32 v159, v155
	v_pk_add_f32 v[152:153], v[158:159], v[152:153]
	v_pk_mul_f32 v[158:159], v[92:93], s[22:23] op_sel_hi:[1,0]
	v_add_u32_e32 v2, 0x800, v64
	v_pk_fma_f32 v[160:161], v[90:91], s[10:11], v[158:159] op_sel:[0,0,1] op_sel_hi:[1,0,0]
	v_pk_fma_f32 v[158:159], v[90:91], s[10:11], v[158:159] op_sel:[0,0,1] op_sel_hi:[1,0,0] neg_lo:[0,0,1] neg_hi:[0,0,1]
	v_mov_b32_e32 v162, v160
	v_mov_b32_e32 v163, v159
	v_pk_add_f32 v[152:153], v[162:163], v[152:153]
	v_pk_mul_f32 v[162:163], v[94:95], s[30:31] op_sel_hi:[1,0]
	v_pk_mul_f32 v[60:61], v[60:61], s[26:27] op_sel_hi:[1,0]
	v_pk_fma_f32 v[164:165], v[50:51], s[24:25], v[162:163] op_sel:[0,0,1] op_sel_hi:[1,0,0]
	v_pk_fma_f32 v[162:163], v[50:51], s[24:25], v[162:163] op_sel:[0,0,1] op_sel_hi:[1,0,0] neg_lo:[0,0,1] neg_hi:[0,0,1]
	v_mov_b32_e32 v166, v164
	v_mov_b32_e32 v167, v163
	v_pk_add_f32 v[152:153], v[166:167], v[152:153]
	v_pk_mul_f32 v[166:167], v[48:49], s[34:35] op_sel_hi:[1,0]
	v_pk_mul_f32 v[88:89], v[88:89], s[34:35] op_sel_hi:[1,0]
	;; [unrolled: 7-line block ×3, first 2 shown]
	v_pk_fma_f32 v[172:173], v[34:35], s[14:15], v[170:171] op_sel:[0,0,1] op_sel_hi:[1,0,0]
	v_pk_fma_f32 v[170:171], v[34:35], s[14:15], v[170:171] op_sel:[0,0,1] op_sel_hi:[1,0,0] neg_lo:[0,0,1] neg_hi:[0,0,1]
	v_mov_b32_e32 v174, v172
	v_mov_b32_e32 v175, v171
	v_pk_add_f32 v[152:153], v[174:175], v[152:153]
	ds_write2_b64 v2, v[126:127], v[152:153] offset0:144 offset1:244
	v_pk_fma_f32 v[126:127], v[56:57], s[24:25], v[60:61] op_sel:[0,0,1] op_sel_hi:[1,0,0]
	v_pk_fma_f32 v[56:57], v[56:57], s[24:25], v[60:61] op_sel:[0,0,1] op_sel_hi:[1,0,0] neg_lo:[0,0,1] neg_hi:[0,0,1]
	v_mov_b32_e32 v60, v126
	v_mov_b32_e32 v61, v57
	v_pk_fma_f32 v[152:153], v[62:63], s[12:13], v[88:89] op_sel:[0,0,1] op_sel_hi:[1,0,0]
	v_pk_fma_f32 v[62:63], v[62:63], s[12:13], v[88:89] op_sel:[0,0,1] op_sel_hi:[1,0,0] neg_lo:[0,0,1] neg_hi:[0,0,1]
	v_pk_add_f32 v[60:61], v[0:1], v[60:61]
	v_mov_b32_e32 v88, v152
	v_mov_b32_e32 v89, v63
	v_pk_add_f32 v[60:61], v[88:89], v[60:61]
	v_pk_mul_f32 v[88:89], v[92:93], s[20:21] op_sel_hi:[1,0]
	v_pk_mul_f32 v[40:41], v[40:41], s[28:29] op_sel_hi:[1,0]
	v_pk_fma_f32 v[92:93], v[90:91], s[18:19], v[88:89] op_sel:[0,0,1] op_sel_hi:[1,0,0]
	v_pk_fma_f32 v[88:89], v[90:91], s[18:19], v[88:89] op_sel:[0,0,1] op_sel_hi:[1,0,0] neg_lo:[0,0,1] neg_hi:[0,0,1]
	v_mov_b32_e32 v90, v92
	v_mov_b32_e32 v91, v89
	v_pk_add_f32 v[60:61], v[90:91], v[60:61]
	v_pk_mul_f32 v[90:91], v[94:95], s[36:37] op_sel_hi:[1,0]
	v_mov_b32_e32 v57, v127
	v_pk_fma_f32 v[94:95], v[50:51], s[10:11], v[90:91] op_sel:[0,0,1] op_sel_hi:[1,0,0]
	v_pk_fma_f32 v[50:51], v[50:51], s[10:11], v[90:91] op_sel:[0,0,1] op_sel_hi:[1,0,0] neg_lo:[0,0,1] neg_hi:[0,0,1]
	v_mov_b32_e32 v90, v94
	v_mov_b32_e32 v91, v51
	v_pk_add_f32 v[60:61], v[90:91], v[60:61]
	v_pk_fma_f32 v[90:91], v[42:43], s[14:15], v[48:49] op_sel:[0,0,1] op_sel_hi:[1,0,0]
	v_pk_fma_f32 v[42:43], v[42:43], s[14:15], v[48:49] op_sel:[0,0,1] op_sel_hi:[1,0,0] neg_lo:[0,0,1] neg_hi:[0,0,1]
	v_mov_b32_e32 v48, v90
	v_mov_b32_e32 v49, v43
	v_pk_add_f32 v[48:49], v[48:49], v[60:61]
	;; [unrolled: 5-line block ×3, first 2 shown]
	v_pk_add_f32 v[48:49], v[0:1], v[56:57]
	v_mov_b32_e32 v63, v153
	v_pk_add_f32 v[48:49], v[62:63], v[48:49]
	v_mov_b32_e32 v89, v93
	;; [unrolled: 2-line block ×5, first 2 shown]
	v_pk_add_f32 v[34:35], v[34:35], v[42:43]
	v_add_u32_e32 v2, 0x1000, v64
	v_mov_b32_e32 v149, v151
	v_mov_b32_e32 v53, v105
	ds_write2_b64 v2, v[40:41], v[34:35] offset0:88 offset1:188
	v_pk_add_f32 v[34:35], v[0:1], v[148:149]
	v_mov_b32_e32 v155, v157
	v_pk_add_f32 v[40:41], v[0:1], v[52:53]
	v_mov_b32_e32 v129, v131
	;; [unrolled: 2-line block ×10, first 2 shown]
	v_pk_add_f32 v[34:35], v[170:171], v[34:35]
	v_pk_add_f32 v[40:41], v[144:145], v[40:41]
	v_add_u32_e32 v2, 0x1800, v64
	v_mov_b32_e32 v101, v103
	v_mov_b32_e32 v29, v27
	;; [unrolled: 1-line block ×3, first 2 shown]
	ds_write2_b64 v2, v[34:35], v[40:41] offset0:32 offset1:132
	v_pk_add_f32 v[34:35], v[0:1], v[100:101]
	v_mov_b32_e32 v107, v109
	v_pk_add_f32 v[26:27], v[0:1], v[28:29]
	v_mov_b32_e32 v33, v31
	v_pk_add_f32 v[0:1], v[0:1], v[4:5]
	v_mov_b32_e32 v9, v7
	v_pk_add_f32 v[34:35], v[106:107], v[34:35]
	v_mov_b32_e32 v111, v113
	v_pk_add_f32 v[26:27], v[32:33], v[26:27]
	v_mov_b32_e32 v39, v37
	v_pk_add_f32 v[0:1], v[8:9], v[0:1]
	v_mov_b32_e32 v13, v11
	v_pk_add_f32 v[34:35], v[110:111], v[34:35]
	v_mov_b32_e32 v115, v117
	v_pk_add_f32 v[26:27], v[38:39], v[26:27]
	v_mov_b32_e32 v47, v45
	v_pk_add_f32 v[0:1], v[12:13], v[0:1]
	v_mov_b32_e32 v17, v15
	v_pk_add_f32 v[34:35], v[114:115], v[34:35]
	v_mov_b32_e32 v119, v121
	v_pk_add_f32 v[26:27], v[46:47], v[26:27]
	v_mov_b32_e32 v55, v59
	v_pk_add_f32 v[0:1], v[16:17], v[0:1]
	v_mov_b32_e32 v21, v19
	v_pk_add_f32 v[34:35], v[118:119], v[34:35]
	v_mov_b32_e32 v123, v125
	v_pk_add_f32 v[26:27], v[54:55], v[26:27]
	v_mov_b32_e32 v97, v99
	v_pk_add_f32 v[0:1], v[20:21], v[0:1]
	v_mov_b32_e32 v25, v23
	v_pk_add_f32 v[34:35], v[122:123], v[34:35]
	v_pk_add_f32 v[26:27], v[96:97], v[26:27]
	v_add_u32_e32 v2, 0x1c00, v64
	v_pk_add_f32 v[0:1], v[24:25], v[0:1]
	ds_write2_b64 v2, v[34:35], v[26:27] offset0:104 offset1:204
	ds_write_b64 v64, v[0:1] offset:9600
.LBB0_9:
	s_or_b64 exec, exec, s[8:9]
	s_waitcnt lgkmcnt(0)
	s_barrier
	ds_read2_b64 v[0:3], v64 offset1:130
	v_mad_u64_u32 v[6:7], s[0:1], s6, v72, 0
	v_mov_b32_e32 v8, v7
	v_mad_u64_u32 v[8:9], s[0:1], s7, v72, v[8:9]
	v_mov_b32_e32 v7, v8
	s_waitcnt lgkmcnt(0)
	v_mul_f32_e32 v8, v87, v1
	v_fmac_f32_e32 v8, v86, v0
	v_mul_f32_e32 v0, v87, v0
	s_mov_b32 s0, 0x7f9b2ce6
	v_fma_f32 v0, v86, v1, -v0
	v_cvt_f64_f32_e32 v[8:9], v8
	s_mov_b32 s1, 0x3f4934c6
	v_cvt_f64_f32_e32 v[0:1], v0
	v_mul_f64 v[8:9], v[8:9], s[0:1]
	v_mul_f64 v[0:1], v[0:1], s[0:1]
	v_mov_b32_e32 v4, s2
	v_mov_b32_e32 v5, s3
	v_cvt_f32_f64_e32 v8, v[8:9]
	v_cvt_f32_f64_e32 v9, v[0:1]
	v_mad_u64_u32 v[0:1], s[2:3], s4, v204, 0
	v_mov_b32_e32 v10, v1
	v_mad_u64_u32 v[10:11], s[2:3], s5, v204, v[10:11]
	v_mov_b32_e32 v1, v10
	v_lshl_add_u64 v[4:5], v[6:7], 3, v[4:5]
	v_lshl_add_u64 v[4:5], v[0:1], 3, v[4:5]
	v_mul_f32_e32 v0, v85, v3
	v_fmac_f32_e32 v0, v84, v2
	v_cvt_f64_f32_e32 v[0:1], v0
	v_mul_f64 v[0:1], v[0:1], s[0:1]
	v_cvt_f32_f64_e32 v6, v[0:1]
	v_mul_f32_e32 v0, v85, v2
	v_fma_f32 v0, v84, v3, -v0
	v_cvt_f64_f32_e32 v[0:1], v0
	v_mul_f64 v[0:1], v[0:1], s[0:1]
	v_cvt_f32_f64_e32 v7, v[0:1]
	v_add_u32_e32 v0, 0x800, v64
	ds_read2_b64 v[0:3], v0 offset0:4 offset1:134
	global_store_dwordx2 v[4:5], v[8:9], off
	v_mov_b32_e32 v8, 0x410
	v_mad_u64_u32 v[4:5], s[2:3], s4, v8, v[4:5]
	s_mulk_i32 s5, 0x410
	v_add_u32_e32 v5, s5, v5
	global_store_dwordx2 v[4:5], v[6:7], off
	s_waitcnt lgkmcnt(0)
	v_mul_f32_e32 v6, v81, v1
	v_fmac_f32_e32 v6, v80, v0
	v_mul_f32_e32 v0, v81, v0
	v_fma_f32 v0, v80, v1, -v0
	v_cvt_f64_f32_e32 v[6:7], v6
	v_cvt_f64_f32_e32 v[0:1], v0
	v_mul_f64 v[6:7], v[6:7], s[0:1]
	v_mul_f64 v[0:1], v[0:1], s[0:1]
	v_cvt_f32_f64_e32 v6, v[6:7]
	v_cvt_f32_f64_e32 v7, v[0:1]
	v_mul_f32_e32 v0, v75, v3
	v_fmac_f32_e32 v0, v74, v2
	v_mad_u64_u32 v[4:5], s[2:3], s4, v8, v[4:5]
	v_cvt_f64_f32_e32 v[0:1], v0
	v_add_u32_e32 v5, s5, v5
	v_mul_f64 v[0:1], v[0:1], s[0:1]
	global_store_dwordx2 v[4:5], v[6:7], off
	v_cvt_f32_f64_e32 v6, v[0:1]
	v_mul_f32_e32 v0, v75, v2
	v_fma_f32 v0, v74, v3, -v0
	v_cvt_f64_f32_e32 v[0:1], v0
	v_mul_f64 v[0:1], v[0:1], s[0:1]
	v_cvt_f32_f64_e32 v7, v[0:1]
	v_add_u32_e32 v0, 0x1000, v64
	ds_read2_b64 v[0:3], v0 offset0:8 offset1:138
	v_mad_u64_u32 v[4:5], s[2:3], s4, v8, v[4:5]
	v_add_u32_e32 v5, s5, v5
	global_store_dwordx2 v[4:5], v[6:7], off
	s_waitcnt lgkmcnt(0)
	v_mul_f32_e32 v6, v83, v1
	v_fmac_f32_e32 v6, v82, v0
	v_mul_f32_e32 v0, v83, v0
	v_fma_f32 v0, v82, v1, -v0
	v_cvt_f64_f32_e32 v[6:7], v6
	v_cvt_f64_f32_e32 v[0:1], v0
	v_mul_f64 v[6:7], v[6:7], s[0:1]
	v_mul_f64 v[0:1], v[0:1], s[0:1]
	v_cvt_f32_f64_e32 v6, v[6:7]
	v_cvt_f32_f64_e32 v7, v[0:1]
	v_mul_f32_e32 v0, v79, v3
	v_fmac_f32_e32 v0, v78, v2
	v_mad_u64_u32 v[4:5], s[2:3], s4, v8, v[4:5]
	v_cvt_f64_f32_e32 v[0:1], v0
	v_add_u32_e32 v5, s5, v5
	v_mul_f64 v[0:1], v[0:1], s[0:1]
	global_store_dwordx2 v[4:5], v[6:7], off
	v_cvt_f32_f64_e32 v6, v[0:1]
	v_mul_f32_e32 v0, v79, v2
	v_fma_f32 v0, v78, v3, -v0
	v_cvt_f64_f32_e32 v[0:1], v0
	v_mul_f64 v[0:1], v[0:1], s[0:1]
	v_cvt_f32_f64_e32 v7, v[0:1]
	v_add_u32_e32 v0, 0x1800, v64
	ds_read2_b64 v[0:3], v0 offset0:12 offset1:142
	v_mad_u64_u32 v[4:5], s[2:3], s4, v8, v[4:5]
	;; [unrolled: 29-line block ×3, first 2 shown]
	v_add_u32_e32 v5, s5, v5
	global_store_dwordx2 v[4:5], v[6:7], off
	s_waitcnt lgkmcnt(0)
	v_mul_f32_e32 v6, v69, v1
	v_fmac_f32_e32 v6, v68, v0
	v_mul_f32_e32 v0, v69, v0
	v_fma_f32 v0, v68, v1, -v0
	v_cvt_f64_f32_e32 v[6:7], v6
	v_cvt_f64_f32_e32 v[0:1], v0
	v_mul_f64 v[6:7], v[6:7], s[0:1]
	v_mul_f64 v[0:1], v[0:1], s[0:1]
	v_cvt_f32_f64_e32 v6, v[6:7]
	v_cvt_f32_f64_e32 v7, v[0:1]
	v_mad_u64_u32 v[0:1], s[2:3], s4, v8, v[4:5]
	v_mul_f32_e32 v4, v67, v3
	v_fmac_f32_e32 v4, v66, v2
	v_mul_f32_e32 v2, v67, v2
	v_fma_f32 v2, v66, v3, -v2
	v_add_u32_e32 v1, s5, v1
	v_cvt_f64_f32_e32 v[4:5], v4
	v_cvt_f64_f32_e32 v[2:3], v2
	global_store_dwordx2 v[0:1], v[6:7], off
	v_mul_f64 v[4:5], v[4:5], s[0:1]
	v_mul_f64 v[2:3], v[2:3], s[0:1]
	v_mad_u64_u32 v[0:1], s[0:1], s4, v8, v[0:1]
	v_cvt_f32_f64_e32 v4, v[4:5]
	v_cvt_f32_f64_e32 v5, v[2:3]
	v_add_u32_e32 v1, s5, v1
	global_store_dwordx2 v[0:1], v[4:5], off
.LBB0_10:
	s_endpgm
	.section	.rodata,"a",@progbits
	.p2align	6, 0x0
	.amdhsa_kernel bluestein_single_fwd_len1300_dim1_sp_op_CI_CI
		.amdhsa_group_segment_fixed_size 10400
		.amdhsa_private_segment_fixed_size 0
		.amdhsa_kernarg_size 104
		.amdhsa_user_sgpr_count 2
		.amdhsa_user_sgpr_dispatch_ptr 0
		.amdhsa_user_sgpr_queue_ptr 0
		.amdhsa_user_sgpr_kernarg_segment_ptr 1
		.amdhsa_user_sgpr_dispatch_id 0
		.amdhsa_user_sgpr_kernarg_preload_length 0
		.amdhsa_user_sgpr_kernarg_preload_offset 0
		.amdhsa_user_sgpr_private_segment_size 0
		.amdhsa_uses_dynamic_stack 0
		.amdhsa_enable_private_segment 0
		.amdhsa_system_sgpr_workgroup_id_x 1
		.amdhsa_system_sgpr_workgroup_id_y 0
		.amdhsa_system_sgpr_workgroup_id_z 0
		.amdhsa_system_sgpr_workgroup_info 0
		.amdhsa_system_vgpr_workitem_id 0
		.amdhsa_next_free_vgpr 208
		.amdhsa_next_free_sgpr 42
		.amdhsa_accum_offset 208
		.amdhsa_reserve_vcc 1
		.amdhsa_float_round_mode_32 0
		.amdhsa_float_round_mode_16_64 0
		.amdhsa_float_denorm_mode_32 3
		.amdhsa_float_denorm_mode_16_64 3
		.amdhsa_dx10_clamp 1
		.amdhsa_ieee_mode 1
		.amdhsa_fp16_overflow 0
		.amdhsa_tg_split 0
		.amdhsa_exception_fp_ieee_invalid_op 0
		.amdhsa_exception_fp_denorm_src 0
		.amdhsa_exception_fp_ieee_div_zero 0
		.amdhsa_exception_fp_ieee_overflow 0
		.amdhsa_exception_fp_ieee_underflow 0
		.amdhsa_exception_fp_ieee_inexact 0
		.amdhsa_exception_int_div_zero 0
	.end_amdhsa_kernel
	.text
.Lfunc_end0:
	.size	bluestein_single_fwd_len1300_dim1_sp_op_CI_CI, .Lfunc_end0-bluestein_single_fwd_len1300_dim1_sp_op_CI_CI
                                        ; -- End function
	.section	.AMDGPU.csdata,"",@progbits
; Kernel info:
; codeLenInByte = 12352
; NumSgprs: 48
; NumVgprs: 208
; NumAgprs: 0
; TotalNumVgprs: 208
; ScratchSize: 0
; MemoryBound: 0
; FloatMode: 240
; IeeeMode: 1
; LDSByteSize: 10400 bytes/workgroup (compile time only)
; SGPRBlocks: 5
; VGPRBlocks: 25
; NumSGPRsForWavesPerEU: 48
; NumVGPRsForWavesPerEU: 208
; AccumOffset: 208
; Occupancy: 2
; WaveLimiterHint : 1
; COMPUTE_PGM_RSRC2:SCRATCH_EN: 0
; COMPUTE_PGM_RSRC2:USER_SGPR: 2
; COMPUTE_PGM_RSRC2:TRAP_HANDLER: 0
; COMPUTE_PGM_RSRC2:TGID_X_EN: 1
; COMPUTE_PGM_RSRC2:TGID_Y_EN: 0
; COMPUTE_PGM_RSRC2:TGID_Z_EN: 0
; COMPUTE_PGM_RSRC2:TIDIG_COMP_CNT: 0
; COMPUTE_PGM_RSRC3_GFX90A:ACCUM_OFFSET: 51
; COMPUTE_PGM_RSRC3_GFX90A:TG_SPLIT: 0
	.text
	.p2alignl 6, 3212836864
	.fill 256, 4, 3212836864
	.type	__hip_cuid_f82eba77513049ab,@object ; @__hip_cuid_f82eba77513049ab
	.section	.bss,"aw",@nobits
	.globl	__hip_cuid_f82eba77513049ab
__hip_cuid_f82eba77513049ab:
	.byte	0                               ; 0x0
	.size	__hip_cuid_f82eba77513049ab, 1

	.ident	"AMD clang version 19.0.0git (https://github.com/RadeonOpenCompute/llvm-project roc-6.4.0 25133 c7fe45cf4b819c5991fe208aaa96edf142730f1d)"
	.section	".note.GNU-stack","",@progbits
	.addrsig
	.addrsig_sym __hip_cuid_f82eba77513049ab
	.amdgpu_metadata
---
amdhsa.kernels:
  - .agpr_count:     0
    .args:
      - .actual_access:  read_only
        .address_space:  global
        .offset:         0
        .size:           8
        .value_kind:     global_buffer
      - .actual_access:  read_only
        .address_space:  global
        .offset:         8
        .size:           8
        .value_kind:     global_buffer
      - .actual_access:  read_only
        .address_space:  global
        .offset:         16
        .size:           8
        .value_kind:     global_buffer
      - .actual_access:  read_only
        .address_space:  global
        .offset:         24
        .size:           8
        .value_kind:     global_buffer
      - .actual_access:  read_only
        .address_space:  global
        .offset:         32
        .size:           8
        .value_kind:     global_buffer
      - .offset:         40
        .size:           8
        .value_kind:     by_value
      - .address_space:  global
        .offset:         48
        .size:           8
        .value_kind:     global_buffer
      - .address_space:  global
        .offset:         56
        .size:           8
        .value_kind:     global_buffer
      - .address_space:  global
        .offset:         64
        .size:           8
        .value_kind:     global_buffer
      - .address_space:  global
        .offset:         72
        .size:           8
        .value_kind:     global_buffer
      - .offset:         80
        .size:           4
        .value_kind:     by_value
      - .address_space:  global
        .offset:         88
        .size:           8
        .value_kind:     global_buffer
      - .address_space:  global
        .offset:         96
        .size:           8
        .value_kind:     global_buffer
    .group_segment_fixed_size: 10400
    .kernarg_segment_align: 8
    .kernarg_segment_size: 104
    .language:       OpenCL C
    .language_version:
      - 2
      - 0
    .max_flat_workgroup_size: 130
    .name:           bluestein_single_fwd_len1300_dim1_sp_op_CI_CI
    .private_segment_fixed_size: 0
    .sgpr_count:     48
    .sgpr_spill_count: 0
    .symbol:         bluestein_single_fwd_len1300_dim1_sp_op_CI_CI.kd
    .uniform_work_group_size: 1
    .uses_dynamic_stack: false
    .vgpr_count:     208
    .vgpr_spill_count: 0
    .wavefront_size: 64
amdhsa.target:   amdgcn-amd-amdhsa--gfx950
amdhsa.version:
  - 1
  - 2
...

	.end_amdgpu_metadata
